;; amdgpu-corpus repo=ROCm/rocFFT kind=compiled arch=gfx950 opt=O3
	.text
	.amdgcn_target "amdgcn-amd-amdhsa--gfx950"
	.amdhsa_code_object_version 6
	.protected	bluestein_single_fwd_len1638_dim1_dp_op_CI_CI ; -- Begin function bluestein_single_fwd_len1638_dim1_dp_op_CI_CI
	.globl	bluestein_single_fwd_len1638_dim1_dp_op_CI_CI
	.p2align	8
	.type	bluestein_single_fwd_len1638_dim1_dp_op_CI_CI,@function
bluestein_single_fwd_len1638_dim1_dp_op_CI_CI: ; @bluestein_single_fwd_len1638_dim1_dp_op_CI_CI
; %bb.0:
	s_load_dwordx4 s[12:15], s[0:1], 0x28
	v_mul_u32_u24_e32 v1, 0x169, v0
	v_mov_b32_e32 v109, 0
	v_add_u32_sdwa v2, s2, v1 dst_sel:DWORD dst_unused:UNUSED_PAD src0_sel:DWORD src1_sel:WORD_1
	v_mov_b32_e32 v3, v109
	v_accvgpr_write_b32 a2, v2
	s_waitcnt lgkmcnt(0)
	v_cmp_gt_u64_e32 vcc, s[12:13], v[2:3]
	s_and_saveexec_b64 s[2:3], vcc
	s_cbranch_execz .LBB0_31
; %bb.1:
	s_load_dwordx2 s[16:17], s[0:1], 0x0
	s_load_dwordx2 s[12:13], s[0:1], 0x38
	s_movk_i32 s2, 0xb6
	v_mul_lo_u16_sdwa v1, v1, s2 dst_sel:DWORD dst_unused:UNUSED_PAD src0_sel:WORD_1 src1_sel:DWORD
	v_sub_u16_e32 v108, v0, v1
	s_movk_i32 s2, 0x7e
	v_cmp_gt_u16_e64 s[6:7], s2, v108
	v_lshlrev_b32_e32 v200, 4, v108
	s_and_saveexec_b64 s[2:3], s[6:7]
	s_cbranch_execz .LBB0_3
; %bb.2:
	s_load_dwordx2 s[4:5], s[0:1], 0x18
	v_accvgpr_read_b32 v10, a2
	v_mov_b32_e32 v0, s14
	v_mov_b32_e32 v1, s15
	;; [unrolled: 1-line block ×3, first 2 shown]
	s_waitcnt lgkmcnt(0)
	s_load_dwordx4 s[8:11], s[4:5], 0x0
	v_mov_b32_e32 v201, 0
	v_lshl_add_u64 v[92:93], s[16:17], 0, v[200:201]
	s_waitcnt lgkmcnt(0)
	v_mad_u64_u32 v[2:3], s[4:5], s10, v10, 0
	v_mad_u64_u32 v[4:5], s[4:5], s8, v108, 0
	v_mov_b32_e32 v6, v3
	v_mov_b32_e32 v8, v5
	v_mad_u64_u32 v[6:7], s[4:5], s11, v10, v[6:7]
	v_mov_b32_e32 v3, v6
	v_mad_u64_u32 v[6:7], s[4:5], s9, v108, v[8:9]
	v_mov_b32_e32 v5, v6
	v_lshl_add_u64 v[0:1], v[2:3], 4, v[0:1]
	v_lshl_add_u64 v[4:5], v[4:5], 4, v[0:1]
	v_mad_u64_u32 v[24:25], s[4:5], s8, v98, v[4:5]
	s_movk_i32 s5, 0x1000
	s_mul_i32 s4, s9, 0x7e0
	v_add_co_u32_e32 v50, vcc, s5, v92
	v_add_u32_e32 v25, s4, v25
	s_movk_i32 s9, 0x2000
	v_addc_co_u32_e32 v51, vcc, 0, v93, vcc
	v_mad_u64_u32 v[48:49], s[10:11], s8, v98, v[24:25]
	v_add_co_u32_e32 v52, vcc, s9, v92
	s_movk_i32 s10, 0x3000
	s_nop 0
	v_addc_co_u32_e32 v53, vcc, 0, v93, vcc
	global_load_dwordx4 v[0:3], v[4:5], off
	v_add_co_u32_e32 v54, vcc, s10, v92
	global_load_dwordx4 v[4:7], v200, s[16:17]
	global_load_dwordx4 v[8:11], v200, s[16:17] offset:2016
	v_add_u32_e32 v49, s4, v49
	s_movk_i32 s11, 0x4000
	v_addc_co_u32_e32 v55, vcc, 0, v93, vcc
	global_load_dwordx4 v[12:15], v200, s[16:17] offset:4032
	global_load_dwordx4 v[20:23], v[24:25], off
	global_load_dwordx4 v[16:19], v[48:49], off
	v_add_co_u32_e32 v88, vcc, s11, v92
	global_load_dwordx4 v[24:27], v[50:51], off offset:1952
	global_load_dwordx4 v[28:31], v[50:51], off offset:3968
	;; [unrolled: 1-line block ×6, first 2 shown]
	v_mad_u64_u32 v[52:53], s[10:11], s8, v98, v[48:49]
	v_add_u32_e32 v53, s4, v53
	v_mad_u64_u32 v[56:57], s[10:11], s8, v98, v[52:53]
	global_load_dwordx4 v[48:51], v[52:53], off
	v_add_u32_e32 v57, s4, v57
	v_mad_u64_u32 v[60:61], s[10:11], s8, v98, v[56:57]
	global_load_dwordx4 v[52:55], v[56:57], off
	;; [unrolled: 3-line block ×7, first 2 shown]
	v_add_u32_e32 v91, s4, v91
	v_addc_co_u32_e32 v89, vcc, 0, v93, vcc
	global_load_dwordx4 v[76:79], v[90:91], off
	global_load_dwordx4 v[80:83], v[88:89], off offset:1760
	global_load_dwordx4 v[84:87], v[88:89], off offset:3776
	s_movk_i32 s5, 0x5000
	v_mad_u64_u32 v[96:97], s[10:11], s8, v98, v[90:91]
	v_add_co_u32_e32 v104, vcc, s5, v92
	v_add_u32_e32 v97, s4, v97
	s_nop 0
	v_addc_co_u32_e32 v105, vcc, 0, v93, vcc
	global_load_dwordx4 v[88:91], v[96:97], off
	global_load_dwordx4 v[92:95], v[104:105], off offset:1696
	v_mad_u64_u32 v[106:107], s[8:9], s8, v98, v[96:97]
	v_add_u32_e32 v107, s4, v107
	global_load_dwordx4 v[96:99], v[106:107], off
	global_load_dwordx4 v[100:103], v[104:105], off offset:3712
	s_waitcnt vmcnt(24)
	v_mul_f64 v[104:105], v[2:3], v[6:7]
	v_mul_f64 v[6:7], v[0:1], v[6:7]
	v_fmac_f64_e32 v[104:105], v[0:1], v[4:5]
	v_fma_f64 v[106:107], v[2:3], v[4:5], -v[6:7]
	ds_write_b128 v200, v[104:107]
	s_waitcnt vmcnt(21)
	v_mul_f64 v[0:1], v[22:23], v[10:11]
	v_mul_f64 v[2:3], v[20:21], v[10:11]
	v_fmac_f64_e32 v[0:1], v[20:21], v[8:9]
	v_fma_f64 v[2:3], v[22:23], v[8:9], -v[2:3]
	ds_write_b128 v200, v[0:3] offset:2016
	s_waitcnt vmcnt(20)
	v_mul_f64 v[0:1], v[18:19], v[14:15]
	v_mul_f64 v[2:3], v[16:17], v[14:15]
	v_fmac_f64_e32 v[0:1], v[16:17], v[12:13]
	v_fma_f64 v[2:3], v[18:19], v[12:13], -v[2:3]
	ds_write_b128 v200, v[0:3] offset:4032
	;; [unrolled: 6-line block ×12, first 2 shown]
.LBB0_3:
	s_or_b64 exec, exec, s[2:3]
	v_accvgpr_write_b32 a0, v108
	v_accvgpr_write_b32 a1, v109
	s_waitcnt lgkmcnt(0)
	s_barrier
	s_waitcnt lgkmcnt(0)
                                        ; implicit-def: $vgpr0_vgpr1
                                        ; implicit-def: $vgpr4_vgpr5
                                        ; implicit-def: $vgpr8_vgpr9
                                        ; implicit-def: $vgpr12_vgpr13
                                        ; implicit-def: $vgpr16_vgpr17
                                        ; implicit-def: $vgpr20_vgpr21
                                        ; implicit-def: $vgpr24_vgpr25
                                        ; implicit-def: $vgpr28_vgpr29
                                        ; implicit-def: $vgpr32_vgpr33
                                        ; implicit-def: $vgpr36_vgpr37
                                        ; implicit-def: $vgpr40_vgpr41
                                        ; implicit-def: $vgpr44_vgpr45
                                        ; implicit-def: $vgpr48_vgpr49
	s_and_saveexec_b64 s[2:3], s[6:7]
	s_cbranch_execz .LBB0_5
; %bb.4:
	ds_read_b128 v[0:3], v200
	ds_read_b128 v[4:7], v200 offset:2016
	ds_read_b128 v[8:11], v200 offset:4032
	;; [unrolled: 1-line block ×12, first 2 shown]
.LBB0_5:
	s_or_b64 exec, exec, s[2:3]
	s_mov_b32 s28, 0x4267c47c
	s_waitcnt lgkmcnt(0)
	v_add_f64 v[60:61], v[6:7], -v[50:51]
	s_mov_b32 s2, 0xe00740e9
	s_mov_b32 s29, 0xbfddbe06
	;; [unrolled: 1-line block ×3, first 2 shown]
	v_add_f64 v[64:65], v[4:5], v[48:49]
	v_add_f64 v[112:113], v[4:5], -v[48:49]
	s_mov_b32 s3, 0x3fec55a7
	v_mul_f64 v[70:71], v[60:61], s[28:29]
	s_mov_b32 s8, 0x1ea71119
	s_mov_b32 s27, 0xbfea55e2
	v_add_f64 v[62:63], v[10:11], -v[46:47]
	v_add_f64 v[66:67], v[6:7], v[50:51]
	v_mul_f64 v[244:245], v[112:113], s[28:29]
	v_fma_f64 v[52:53], s[2:3], v[64:65], v[70:71]
	s_mov_b32 s9, 0x3fe22d96
	s_mov_b32 s24, 0x66966769
	v_add_f64 v[108:109], v[8:9], v[44:45]
	v_add_f64 v[164:165], v[8:9], -v[44:45]
	v_mul_f64 v[72:73], v[62:63], s[26:27]
	v_add_f64 v[52:53], v[0:1], v[52:53]
	v_fma_f64 v[54:55], v[66:67], s[2:3], -v[244:245]
	s_mov_b32 s10, 0xebaa3ed8
	s_mov_b32 s25, 0xbfefc445
	v_add_f64 v[114:115], v[10:11], v[46:47]
	v_mul_f64 v[74:75], v[164:165], s[26:27]
	v_fma_f64 v[56:57], s[8:9], v[108:109], v[72:73]
	v_add_f64 v[186:187], v[14:15], -v[42:43]
	v_add_f64 v[54:55], v[2:3], v[54:55]
	s_mov_b32 s11, 0x3fbedb7d
	v_add_f64 v[52:53], v[56:57], v[52:53]
	v_fma_f64 v[56:57], v[114:115], s[8:9], -v[74:75]
	v_add_f64 v[118:119], v[12:13], v[40:41]
	v_mul_f64 v[76:77], v[186:187], s[24:25]
	v_add_f64 v[182:183], v[12:13], -v[40:41]
	s_mov_b32 s30, 0x2ef20147
	v_add_f64 v[54:55], v[56:57], v[54:55]
	v_add_f64 v[120:121], v[14:15], v[42:43]
	v_fma_f64 v[56:57], s[10:11], v[118:119], v[76:77]
	v_mul_f64 v[78:79], v[182:183], s[24:25]
	s_mov_b32 s20, 0xb2365da1
	s_mov_b32 s31, 0xbfedeba7
	v_add_f64 v[202:203], v[18:19], -v[38:39]
	v_add_f64 v[52:53], v[56:57], v[52:53]
	v_fma_f64 v[56:57], v[120:121], s[10:11], -v[78:79]
	s_mov_b32 s21, 0xbfd6b1d8
	v_add_f64 v[128:129], v[16:17], v[36:37]
	v_mul_f64 v[80:81], v[202:203], s[30:31]
	v_add_f64 v[196:197], v[16:17], -v[36:37]
	s_mov_b32 s34, 0x24c2f84
	v_add_f64 v[54:55], v[56:57], v[54:55]
	v_fma_f64 v[56:57], s[20:21], v[128:129], v[80:81]
	v_add_f64 v[132:133], v[18:19], v[38:39]
	v_mul_f64 v[82:83], v[196:197], s[30:31]
	s_mov_b32 s14, 0xd0032e0c
	s_mov_b32 s35, 0xbfe5384d
	v_add_f64 v[212:213], v[22:23], -v[34:35]
	v_add_f64 v[52:53], v[56:57], v[52:53]
	v_fma_f64 v[56:57], v[132:133], s[20:21], -v[82:83]
	s_mov_b32 s15, 0xbfe7f3cc
	v_add_f64 v[138:139], v[20:21], v[32:33]
	v_mul_f64 v[84:85], v[212:213], s[34:35]
	v_add_f64 v[210:211], v[20:21], -v[32:33]
	s_mov_b32 s36, 0x4bc48dbf
	v_add_f64 v[54:55], v[56:57], v[54:55]
	v_fma_f64 v[56:57], s[14:15], v[138:139], v[84:85]
	v_add_f64 v[142:143], v[22:23], v[34:35]
	v_mul_f64 v[86:87], v[210:211], s[34:35]
	s_mov_b32 s22, 0x93053d00
	s_mov_b32 s37, 0xbfcea1e5
	v_add_f64 v[218:219], v[26:27], -v[30:31]
	v_add_f64 v[52:53], v[56:57], v[52:53]
	v_fma_f64 v[56:57], v[142:143], s[14:15], -v[86:87]
	s_mov_b32 s23, 0xbfef11f4
	v_add_f64 v[144:145], v[24:25], v[28:29]
	v_mul_f64 v[88:89], v[218:219], s[36:37]
	v_add_f64 v[216:217], v[24:25], -v[28:29]
	v_add_f64 v[54:55], v[56:57], v[54:55]
	v_fma_f64 v[56:57], s[22:23], v[144:145], v[88:89]
	v_add_f64 v[148:149], v[26:27], v[30:31]
	v_mul_f64 v[90:91], v[216:217], s[36:37]
	v_add_f64 v[92:93], v[56:57], v[52:53]
	v_fma_f64 v[52:53], v[148:149], s[22:23], -v[90:91]
	v_mul_f64 v[104:105], v[60:61], s[26:27]
	v_add_f64 v[94:95], v[52:53], v[54:55]
	v_fma_f64 v[52:53], s[8:9], v[64:65], v[104:105]
	v_mul_f64 v[106:107], v[62:63], s[30:31]
	v_add_f64 v[52:53], v[0:1], v[52:53]
	v_fma_f64 v[54:55], s[20:21], v[108:109], v[106:107]
	v_mul_f64 v[116:117], v[112:113], s[26:27]
	v_add_f64 v[52:53], v[54:55], v[52:53]
	v_fma_f64 v[54:55], v[66:67], s[8:9], -v[116:117]
	v_mul_f64 v[124:125], v[164:165], s[30:31]
	v_add_f64 v[54:55], v[2:3], v[54:55]
	v_fma_f64 v[56:57], v[114:115], s[20:21], -v[124:125]
	v_mul_f64 v[110:111], v[186:187], s[36:37]
	v_add_f64 v[54:55], v[56:57], v[54:55]
	v_fma_f64 v[56:57], s[22:23], v[118:119], v[110:111]
	v_mul_f64 v[126:127], v[182:183], s[36:37]
	s_mov_b32 s43, 0x3fe5384d
	s_mov_b32 s42, s34
	v_add_f64 v[52:53], v[56:57], v[52:53]
	v_fma_f64 v[56:57], v[120:121], s[22:23], -v[126:127]
	v_mul_f64 v[122:123], v[202:203], s[42:43]
	v_add_f64 v[54:55], v[56:57], v[54:55]
	v_fma_f64 v[56:57], s[14:15], v[128:129], v[122:123]
	v_mul_f64 v[134:135], v[196:197], s[42:43]
	s_mov_b32 s41, 0x3fefc445
	s_mov_b32 s40, s24
	;; [unrolled: 8-line block ×3, first 2 shown]
	v_add_f64 v[52:53], v[56:57], v[52:53]
	v_fma_f64 v[56:57], v[142:143], s[10:11], -v[140:141]
	v_mul_f64 v[136:137], v[218:219], s[38:39]
	v_add_f64 v[54:55], v[56:57], v[54:55]
	v_fma_f64 v[56:57], s[2:3], v[144:145], v[136:137]
	v_mul_f64 v[146:147], v[216:217], s[38:39]
	v_add_f64 v[96:97], v[56:57], v[52:53]
	v_fma_f64 v[52:53], v[148:149], s[2:3], -v[146:147]
	v_mul_f64 v[150:151], v[60:61], s[24:25]
	v_add_f64 v[98:99], v[52:53], v[54:55]
	v_fma_f64 v[52:53], s[10:11], v[64:65], v[150:151]
	v_mul_f64 v[152:153], v[62:63], s[36:37]
	v_add_f64 v[52:53], v[0:1], v[52:53]
	v_fma_f64 v[54:55], s[22:23], v[108:109], v[152:153]
	v_mul_f64 v[156:157], v[112:113], s[24:25]
	v_add_f64 v[52:53], v[54:55], v[52:53]
	v_fma_f64 v[54:55], v[66:67], s[10:11], -v[156:157]
	v_mul_f64 v[160:161], v[164:165], s[36:37]
	s_mov_b32 s45, 0x3fedeba7
	s_mov_b32 s44, s30
	v_add_f64 v[54:55], v[2:3], v[54:55]
	v_fma_f64 v[56:57], v[114:115], s[22:23], -v[160:161]
	v_mul_f64 v[154:155], v[186:187], s[44:45]
	v_add_f64 v[54:55], v[56:57], v[54:55]
	v_fma_f64 v[56:57], s[20:21], v[118:119], v[154:155]
	v_mul_f64 v[166:167], v[182:183], s[44:45]
	v_add_f64 v[52:53], v[56:57], v[52:53]
	v_fma_f64 v[56:57], v[120:121], s[20:21], -v[166:167]
	v_mul_f64 v[158:159], v[202:203], s[38:39]
	v_add_f64 v[54:55], v[56:57], v[54:55]
	v_fma_f64 v[56:57], s[2:3], v[128:129], v[158:159]
	v_mul_f64 v[170:171], v[196:197], s[38:39]
	v_add_f64 v[52:53], v[56:57], v[52:53]
	v_fma_f64 v[56:57], v[132:133], s[2:3], -v[170:171]
	v_mul_f64 v[162:163], v[212:213], s[26:27]
	v_add_f64 v[54:55], v[56:57], v[54:55]
	v_fma_f64 v[56:57], s[8:9], v[138:139], v[162:163]
	v_mul_f64 v[172:173], v[210:211], s[26:27]
	v_add_f64 v[52:53], v[56:57], v[52:53]
	v_fma_f64 v[56:57], v[142:143], s[8:9], -v[172:173]
	v_mul_f64 v[168:169], v[218:219], s[34:35]
	v_add_f64 v[54:55], v[56:57], v[54:55]
	v_fma_f64 v[56:57], s[14:15], v[144:145], v[168:169]
	v_mul_f64 v[174:175], v[216:217], s[34:35]
	v_add_f64 v[100:101], v[56:57], v[52:53]
	v_fma_f64 v[52:53], v[148:149], s[14:15], -v[174:175]
	v_mul_f64 v[176:177], v[60:61], s[30:31]
	v_add_f64 v[102:103], v[52:53], v[54:55]
	v_fma_f64 v[52:53], s[20:21], v[64:65], v[176:177]
	v_mul_f64 v[178:179], v[62:63], s[42:43]
	v_add_f64 v[52:53], v[0:1], v[52:53]
	v_fma_f64 v[54:55], s[14:15], v[108:109], v[178:179]
	v_mul_f64 v[190:191], v[112:113], s[30:31]
	v_add_f64 v[52:53], v[54:55], v[52:53]
	v_fma_f64 v[54:55], v[66:67], s[20:21], -v[190:191]
	v_mul_f64 v[194:195], v[164:165], s[42:43]
	v_add_f64 v[54:55], v[2:3], v[54:55]
	v_fma_f64 v[56:57], v[114:115], s[14:15], -v[194:195]
	v_mul_f64 v[180:181], v[186:187], s[38:39]
	v_add_f64 v[54:55], v[56:57], v[54:55]
	v_fma_f64 v[56:57], s[2:3], v[118:119], v[180:181]
	v_mul_f64 v[198:199], v[182:183], s[38:39]
	v_add_f64 v[52:53], v[56:57], v[52:53]
	v_fma_f64 v[56:57], v[120:121], s[2:3], -v[198:199]
	v_mul_f64 v[184:185], v[202:203], s[24:25]
	v_add_f64 v[54:55], v[56:57], v[54:55]
	v_fma_f64 v[56:57], s[10:11], v[128:129], v[184:185]
	v_mul_f64 v[204:205], v[196:197], s[24:25]
	s_mov_b32 s49, 0x3fcea1e5
	s_mov_b32 s48, s36
	v_add_f64 v[52:53], v[56:57], v[52:53]
	v_fma_f64 v[56:57], v[132:133], s[10:11], -v[204:205]
	v_mul_f64 v[188:189], v[212:213], s[48:49]
	v_add_f64 v[54:55], v[56:57], v[54:55]
	v_fma_f64 v[56:57], s[22:23], v[138:139], v[188:189]
	v_mul_f64 v[206:207], v[210:211], s[48:49]
	s_mov_b32 s47, 0x3fea55e2
	s_mov_b32 s46, s26
	v_add_f64 v[52:53], v[56:57], v[52:53]
	v_fma_f64 v[56:57], v[142:143], s[22:23], -v[206:207]
	v_mul_f64 v[192:193], v[218:219], s[46:47]
	v_add_f64 v[54:55], v[56:57], v[54:55]
	v_fma_f64 v[56:57], s[8:9], v[144:145], v[192:193]
	v_mul_f64 v[208:209], v[216:217], s[46:47]
	v_add_f64 v[56:57], v[56:57], v[52:53]
	v_fma_f64 v[52:53], v[148:149], s[8:9], -v[208:209]
	v_mul_f64 v[214:215], v[60:61], s[34:35]
	v_add_f64 v[58:59], v[52:53], v[54:55]
	v_fma_f64 v[52:53], s[14:15], v[64:65], v[214:215]
	v_mul_f64 v[220:221], v[62:63], s[40:41]
	v_add_f64 v[52:53], v[0:1], v[52:53]
	v_fma_f64 v[54:55], s[10:11], v[108:109], v[220:221]
	v_mul_f64 v[230:231], v[112:113], s[34:35]
	v_add_f64 v[52:53], v[54:55], v[52:53]
	v_fma_f64 v[54:55], v[66:67], s[14:15], -v[230:231]
	v_mul_f64 v[232:233], v[164:165], s[40:41]
	v_add_f64 v[54:55], v[2:3], v[54:55]
	v_fma_f64 v[222:223], v[114:115], s[10:11], -v[232:233]
	v_add_f64 v[54:55], v[222:223], v[54:55]
	v_mul_f64 v[222:223], v[186:187], s[26:27]
	v_fma_f64 v[224:225], s[8:9], v[118:119], v[222:223]
	v_mul_f64 v[234:235], v[182:183], s[26:27]
	v_add_f64 v[52:53], v[224:225], v[52:53]
	v_fma_f64 v[224:225], v[120:121], s[8:9], -v[234:235]
	v_add_f64 v[54:55], v[224:225], v[54:55]
	v_mul_f64 v[224:225], v[202:203], s[48:49]
	v_fma_f64 v[226:227], s[22:23], v[128:129], v[224:225]
	;; [unrolled: 6-line block ×3, first 2 shown]
	v_mul_f64 v[238:239], v[210:211], s[38:39]
	v_add_f64 v[52:53], v[228:229], v[52:53]
	v_fma_f64 v[228:229], v[142:143], s[2:3], -v[238:239]
	v_add_f64 v[54:55], v[228:229], v[54:55]
	v_mul_f64 v[228:229], v[218:219], s[30:31]
	s_load_dwordx2 s[4:5], s[0:1], 0x20
	s_nop 0
	s_load_dwordx2 s[0:1], s[0:1], 0x8
	v_fma_f64 v[240:241], s[20:21], v[144:145], v[228:229]
	v_add_f64 v[52:53], v[240:241], v[52:53]
	v_mul_f64 v[240:241], v[216:217], s[30:31]
	v_accvgpr_read_b32 v69, a1
	v_fma_f64 v[242:243], v[148:149], s[20:21], -v[240:241]
	v_accvgpr_read_b32 v68, a0
	v_add_f64 v[54:55], v[242:243], v[54:55]
	v_mul_lo_u16_e32 v201, 13, v68
	s_waitcnt lgkmcnt(0)
	s_barrier
	s_and_saveexec_b64 s[18:19], s[6:7]
	s_cbranch_execz .LBB0_7
; %bb.6:
	v_accvgpr_write_b32 a4, v244
	v_mul_f64 v[248:249], v[66:67], s[22:23]
	v_accvgpr_write_b32 a5, v245
	v_mul_f64 v[244:245], v[114:115], s[2:3]
	v_fma_f64 v[250:251], s[48:49], v[112:113], v[248:249]
	v_mul_f64 v[242:243], v[120:121], s[14:15]
	v_fma_f64 v[246:247], s[28:29], v[164:165], v[244:245]
	v_add_f64 v[250:251], v[2:3], v[250:251]
	v_add_f64 v[246:247], v[246:247], v[250:251]
	v_fma_f64 v[250:251], s[42:43], v[182:183], v[242:243]
	v_add_f64 v[246:247], v[250:251], v[246:247]
	v_mul_f64 v[250:251], v[132:133], s[8:9]
	v_fma_f64 v[252:253], s[26:27], v[196:197], v[250:251]
	v_add_f64 v[246:247], v[252:253], v[246:247]
	v_mul_f64 v[252:253], v[142:143], s[20:21]
	v_fma_f64 v[254:255], s[44:45], v[210:211], v[252:253]
	v_mul_f64 v[68:69], v[60:61], s[36:37]
	v_add_f64 v[246:247], v[254:255], v[246:247]
	v_mul_f64 v[254:255], v[62:63], s[38:39]
	v_fma_f64 v[60:61], s[22:23], v[64:65], v[68:69]
	v_add_f64 v[60:61], v[0:1], v[60:61]
	v_fma_f64 v[62:63], s[2:3], v[108:109], v[254:255]
	v_mul_f64 v[186:187], v[186:187], s[34:35]
	v_add_f64 v[60:61], v[62:63], v[60:61]
	v_fma_f64 v[62:63], s[14:15], v[118:119], v[186:187]
	v_mul_f64 v[202:203], v[202:203], s[46:47]
	;; [unrolled: 3-line block ×3, first 2 shown]
	v_accvgpr_write_b32 a6, v70
	v_add_f64 v[60:61], v[62:63], v[60:61]
	v_fma_f64 v[62:63], s[20:21], v[138:139], v[212:213]
	v_accvgpr_write_b32 a7, v71
	v_mul_f64 v[70:71], v[148:149], s[10:11]
	v_add_f64 v[60:61], v[62:63], v[60:61]
	v_fma_f64 v[62:63], s[24:25], v[216:217], v[70:71]
	v_mul_f64 v[218:219], v[218:219], s[40:41]
	v_fmac_f64_e32 v[248:249], s[36:37], v[112:113]
	v_add_f64 v[62:63], v[62:63], v[246:247]
	v_fma_f64 v[246:247], s[10:11], v[144:145], v[218:219]
	v_fmac_f64_e32 v[250:251], s[46:47], v[196:197]
	v_fmac_f64_e32 v[244:245], s[38:39], v[164:165]
	v_add_f64 v[196:197], v[2:3], v[248:249]
	v_fma_f64 v[68:69], v[64:65], s[22:23], -v[68:69]
	v_add_f64 v[60:61], v[246:247], v[60:61]
	v_fmac_f64_e32 v[252:253], s[30:31], v[210:211]
	v_fmac_f64_e32 v[242:243], s[34:35], v[182:183]
	v_add_f64 v[210:211], v[244:245], v[196:197]
	v_fma_f64 v[246:247], v[108:109], s[2:3], -v[254:255]
	v_add_f64 v[68:69], v[0:1], v[68:69]
	v_fmac_f64_e32 v[70:71], s[40:41], v[216:217]
	v_mul_f64 v[182:183], v[64:65], s[2:3]
	v_mul_f64 v[112:113], v[64:65], s[8:9]
	v_add_f64 v[210:211], v[242:243], v[210:211]
	v_mul_f64 v[216:217], v[64:65], s[10:11]
	v_mul_f64 v[244:245], v[64:65], s[20:21]
	v_add_f64 v[68:69], v[246:247], v[68:69]
	v_mul_f64 v[248:249], v[64:65], s[14:15]
	v_fma_f64 v[64:65], v[118:119], s[14:15], -v[186:187]
	v_mul_f64 v[164:165], v[66:67], s[2:3]
	v_mul_f64 v[196:197], v[66:67], s[8:9]
	v_add_f64 v[210:211], v[250:251], v[210:211]
	v_mul_f64 v[242:243], v[66:67], s[10:11]
	v_mul_f64 v[246:247], v[66:67], s[20:21]
	;; [unrolled: 1-line block ×3, first 2 shown]
	v_add_f64 v[64:65], v[64:65], v[68:69]
	v_fma_f64 v[66:67], v[128:129], s[8:9], -v[202:203]
	v_add_f64 v[210:211], v[252:253], v[210:211]
	v_add_f64 v[64:65], v[66:67], v[64:65]
	v_fma_f64 v[66:67], v[138:139], s[20:21], -v[212:213]
	v_add_f64 v[64:65], v[66:67], v[64:65]
	v_add_f64 v[66:67], v[70:71], v[210:211]
	v_fma_f64 v[70:71], v[144:145], s[10:11], -v[218:219]
	v_mul_f64 v[218:219], v[132:133], s[22:23]
	v_add_f64 v[218:219], v[236:237], v[218:219]
	v_mul_f64 v[236:237], v[120:121], s[8:9]
	v_add_f64 v[234:235], v[234:235], v[236:237]
	;; [unrolled: 2-line block ×3, first 2 shown]
	v_add_f64 v[232:233], v[232:233], v[236:237]
	v_add_f64 v[230:231], v[2:3], v[230:231]
	;; [unrolled: 1-line block ×3, first 2 shown]
	v_mul_f64 v[212:213], v[142:143], s[2:3]
	v_add_f64 v[230:231], v[234:235], v[230:231]
	v_add_f64 v[212:213], v[238:239], v[212:213]
	;; [unrolled: 1-line block ×4, first 2 shown]
	v_mul_f64 v[218:219], v[144:145], s[20:21]
	v_mul_f64 v[186:187], v[108:109], s[8:9]
	;; [unrolled: 1-line block ×7, first 2 shown]
	v_add_f64 v[218:219], v[218:219], -v[228:229]
	v_mul_f64 v[228:229], v[138:139], s[2:3]
	v_add_f64 v[214:215], v[248:249], -v[214:215]
	v_add_f64 v[210:211], v[240:241], v[210:211]
	v_add_f64 v[226:227], v[228:229], -v[226:227]
	v_mul_f64 v[228:229], v[128:129], s[22:23]
	v_add_f64 v[108:109], v[108:109], -v[220:221]
	v_add_f64 v[214:215], v[0:1], v[214:215]
	v_mul_f64 v[68:69], v[114:115], s[8:9]
	v_add_f64 v[64:65], v[70:71], v[64:65]
	v_mul_f64 v[70:71], v[114:115], s[20:21]
	v_mul_f64 v[238:239], v[114:115], s[22:23]
	;; [unrolled: 1-line block ×4, first 2 shown]
	v_add_f64 v[224:225], v[228:229], -v[224:225]
	v_mul_f64 v[228:229], v[118:119], s[8:9]
	v_mul_f64 v[220:221], v[120:121], s[22:23]
	v_add_f64 v[108:109], v[108:109], v[214:215]
	v_mul_f64 v[214:215], v[120:121], s[20:21]
	v_mul_f64 v[250:251], v[120:121], s[2:3]
	v_add_f64 v[120:121], v[210:211], v[212:213]
	v_mul_f64 v[210:211], v[148:149], s[8:9]
	v_add_f64 v[190:191], v[190:191], v[246:247]
	v_add_f64 v[222:223], v[228:229], -v[222:223]
	v_add_f64 v[208:209], v[208:209], v[210:211]
	v_mul_f64 v[210:211], v[142:143], s[22:23]
	v_add_f64 v[114:115], v[194:195], v[114:115]
	v_add_f64 v[190:191], v[2:3], v[190:191]
	;; [unrolled: 1-line block ×4, first 2 shown]
	v_mul_f64 v[210:211], v[132:133], s[10:11]
	v_add_f64 v[198:199], v[198:199], v[250:251]
	v_add_f64 v[114:115], v[114:115], v[190:191]
	;; [unrolled: 1-line block ×6, first 2 shown]
	v_accvgpr_read_b32 v75, a5
	v_add_f64 v[108:109], v[226:227], v[108:109]
	v_add_f64 v[114:115], v[204:205], v[114:115]
	v_add_f64 v[176:177], v[244:245], -v[176:177]
	v_accvgpr_read_b32 v74, a4
	v_mul_f64 v[234:235], v[118:119], s[10:11]
	v_mul_f64 v[228:229], v[118:119], s[22:23]
	;; [unrolled: 1-line block ×4, first 2 shown]
	v_add_f64 v[118:119], v[218:219], v[108:109]
	v_mul_f64 v[212:213], v[138:139], s[14:15]
	v_mul_f64 v[218:219], v[138:139], s[10:11]
	;; [unrolled: 1-line block ×4, first 2 shown]
	v_add_f64 v[114:115], v[206:207], v[114:115]
	v_add_f64 v[178:179], v[232:233], -v[178:179]
	v_add_f64 v[176:177], v[0:1], v[176:177]
	v_add_f64 v[74:75], v[74:75], v[164:165]
	v_mul_f64 v[222:223], v[128:129], s[20:21]
	v_mul_f64 v[226:227], v[128:129], s[14:15]
	;; [unrolled: 1-line block ×9, first 2 shown]
	v_add_f64 v[138:139], v[138:139], -v[188:189]
	v_mul_f64 v[188:189], v[144:145], s[2:3]
	v_mul_f64 v[206:207], v[144:145], s[14:15]
	v_add_f64 v[144:145], v[208:209], v[114:115]
	v_add_f64 v[114:115], v[248:249], -v[180:181]
	v_add_f64 v[176:177], v[178:179], v[176:177]
	v_add_f64 v[74:75], v[2:3], v[74:75]
	v_add_f64 v[128:129], v[128:129], -v[184:185]
	v_add_f64 v[114:115], v[114:115], v[176:177]
	v_add_f64 v[78:79], v[78:79], v[230:231]
	v_add_f64 v[68:69], v[68:69], v[74:75]
	v_add_f64 v[114:115], v[128:129], v[114:115]
	v_add_f64 v[68:69], v[78:79], v[68:69]
	v_add_f64 v[78:79], v[222:223], -v[80:81]
	v_accvgpr_read_b32 v81, a7
	v_add_f64 v[142:143], v[142:143], -v[192:193]
	v_mul_f64 v[192:193], v[148:149], s[22:23]
	v_mul_f64 v[184:185], v[148:149], s[2:3]
	;; [unrolled: 1-line block ×3, first 2 shown]
	v_add_f64 v[114:115], v[138:139], v[114:115]
	v_add_f64 v[156:157], v[156:157], v[242:243]
	v_accvgpr_read_b32 v80, a6
	v_add_f64 v[142:143], v[142:143], v[114:115]
	v_add_f64 v[114:115], v[174:175], v[148:149]
	;; [unrolled: 1-line block ×4, first 2 shown]
	v_add_f64 v[150:151], v[216:217], -v[150:151]
	v_add_f64 v[116:117], v[116:117], v[196:197]
	v_add_f64 v[104:105], v[112:113], -v[104:105]
	v_add_f64 v[80:81], v[182:183], -v[80:81]
	v_mul_f64 v[224:225], v[132:133], s[20:21]
	v_mul_f64 v[108:109], v[132:133], s[14:15]
	;; [unrolled: 1-line block ×3, first 2 shown]
	v_add_f64 v[138:139], v[166:167], v[214:215]
	v_add_f64 v[148:149], v[148:149], v[156:157]
	;; [unrolled: 1-line block ×10, first 2 shown]
	v_add_f64 v[148:149], v[236:237], -v[152:153]
	v_add_f64 v[2:3], v[2:3], v[10:11]
	v_add_f64 v[0:1], v[0:1], v[8:9]
	v_add_f64 v[128:129], v[172:173], v[246:247]
	v_add_f64 v[132:133], v[132:133], v[138:139]
	v_add_f64 v[138:139], v[240:241], -v[154:155]
	v_add_f64 v[148:149], v[148:149], v[150:151]
	v_add_f64 v[2:3], v[2:3], v[14:15]
	v_add_f64 v[0:1], v[0:1], v[12:13]
	v_add_f64 v[128:129], v[128:129], v[132:133]
	;; [unrolled: 5-line block ×3, first 2 shown]
	v_add_f64 v[156:157], v[114:115], v[128:129]
	v_add_f64 v[128:129], v[198:199], -v[162:163]
	v_add_f64 v[132:133], v[132:133], v[138:139]
	v_add_f64 v[126:127], v[126:127], v[220:221]
	;; [unrolled: 1-line block ×5, first 2 shown]
	v_add_f64 v[114:115], v[206:207], -v[168:169]
	v_add_f64 v[128:129], v[128:129], v[132:133]
	v_add_f64 v[108:109], v[134:135], v[108:109]
	;; [unrolled: 1-line block ×3, first 2 shown]
	v_add_f64 v[106:107], v[202:203], -v[106:107]
	v_add_f64 v[2:3], v[2:3], v[26:27]
	v_add_f64 v[0:1], v[0:1], v[24:25]
	;; [unrolled: 1-line block ×5, first 2 shown]
	v_add_f64 v[110:111], v[228:229], -v[110:111]
	v_add_f64 v[104:105], v[106:107], v[104:105]
	v_add_f64 v[2:3], v[2:3], v[30:31]
	;; [unrolled: 1-line block ×5, first 2 shown]
	v_add_f64 v[116:117], v[226:227], -v[122:123]
	v_add_f64 v[104:105], v[110:111], v[104:105]
	v_add_f64 v[72:73], v[186:187], -v[72:73]
	v_add_f64 v[2:3], v[2:3], v[34:35]
	v_add_f64 v[0:1], v[0:1], v[32:33]
	;; [unrolled: 1-line block ×3, first 2 shown]
	v_add_f64 v[114:115], v[218:219], -v[130:131]
	v_add_f64 v[104:105], v[116:117], v[104:105]
	v_add_f64 v[82:83], v[82:83], v[224:225]
	v_add_f64 v[76:77], v[234:235], -v[76:77]
	v_add_f64 v[72:73], v[72:73], v[80:81]
	v_add_f64 v[2:3], v[2:3], v[38:39]
	;; [unrolled: 1-line block ×3, first 2 shown]
	v_add_f64 v[70:71], v[188:189], -v[136:137]
	v_add_f64 v[104:105], v[114:115], v[104:105]
	v_add_f64 v[86:87], v[86:87], v[194:195]
	;; [unrolled: 1-line block ×9, first 2 shown]
	v_add_f64 v[74:75], v[212:213], -v[84:85]
	v_add_f64 v[72:73], v[78:79], v[72:73]
	v_add_f64 v[2:3], v[2:3], v[46:47]
	;; [unrolled: 1-line block ×4, first 2 shown]
	v_add_f64 v[68:69], v[204:205], -v[88:89]
	v_add_f64 v[72:73], v[74:75], v[72:73]
	v_add_f64 v[2:3], v[2:3], v[50:51]
	;; [unrolled: 1-line block ×3, first 2 shown]
	v_lshlrev_b32_e32 v4, 4, v201
	v_add_f64 v[68:69], v[68:69], v[72:73]
	ds_write_b128 v4, v[0:3]
	ds_write_b128 v4, v[68:71] offset:16
	ds_write_b128 v4, v[106:109] offset:32
	;; [unrolled: 1-line block ×12, first 2 shown]
.LBB0_7:
	s_or_b64 exec, exec, s[18:19]
	s_waitcnt lgkmcnt(0)
	s_barrier
	ds_read_b128 v[20:23], v200
	ds_read_b128 v[24:27], v200 offset:2912
	ds_read_b128 v[40:43], v200 offset:13104
	;; [unrolled: 1-line block ×7, first 2 shown]
	v_accvgpr_read_b32 v203, a1
	s_movk_i32 s2, 0x5b
	v_accvgpr_read_b32 v202, a0
	v_cmp_gt_u16_e64 s[2:3], s2, v202
	s_and_saveexec_b64 s[8:9], s[2:3]
	s_cbranch_execz .LBB0_9
; %bb.8:
	ds_read_b128 v[52:55], v200 offset:11648
	ds_read_b128 v[56:59], v200 offset:24752
.LBB0_9:
	s_or_b64 exec, exec, s[8:9]
	s_mov_b64 s[8:9], 0xb6
	v_lshl_add_u64 v[150:151], v[202:203], 0, s[8:9]
	s_mov_b64 s[8:9], 0x16c
	v_lshl_add_u64 v[148:149], v[202:203], 0, s[8:9]
	s_mov_b64 s[8:9], 0x222
	s_movk_i32 s14, 0x4f
	v_lshl_add_u64 v[2:3], v[202:203], 0, s[8:9]
	v_mul_lo_u16_sdwa v0, v202, s14 dst_sel:DWORD dst_unused:UNUSED_PAD src0_sel:BYTE_0 src1_sel:DWORD
	v_lshrrev_b16_e32 v3, 10, v0
	s_movk_i32 s8, 0x4ec5
	v_mul_lo_u16_e32 v0, 13, v3
	v_mul_u32_u24_sdwa v1, v150, s8 dst_sel:DWORD dst_unused:UNUSED_PAD src0_sel:WORD_0 src1_sel:DWORD
	v_sub_u16_e32 v0, v202, v0
	v_lshrrev_b32_e32 v5, 18, v1
	v_and_b32_e32 v4, 0xff, v0
	v_mul_lo_u16_e32 v6, 13, v5
	v_lshlrev_b32_e32 v0, 4, v4
	v_sub_u16_e32 v6, v150, v6
	v_lshlrev_b32_e32 v7, 4, v6
	global_load_dwordx4 v[72:75], v0, s[0:1]
	global_load_dwordx4 v[68:71], v7, s[0:1]
	v_mul_u32_u24_sdwa v0, v148, s8 dst_sel:DWORD dst_unused:UNUSED_PAD src0_sel:WORD_0 src1_sel:DWORD
	v_lshrrev_b32_e32 v62, 18, v0
	v_mul_lo_u16_e32 v7, 13, v62
	v_sub_u16_e32 v63, v148, v7
	v_add_u16_e32 v7, 0x2d8, v202
	v_mul_u32_u24_e32 v8, 0x4ec5, v7
	v_lshrrev_b32_e32 v66, 18, v8
	v_mul_lo_u16_e32 v8, 13, v66
	v_sub_u16_e32 v67, v7, v8
	v_mul_u32_u24_sdwa v8, v2, s8 dst_sel:DWORD dst_unused:UNUSED_PAD src0_sel:WORD_0 src1_sel:DWORD
	v_lshrrev_b32_e32 v64, 18, v8
	v_mul_lo_u16_e32 v8, 13, v64
	v_sub_u16_e32 v65, v2, v8
	v_lshlrev_b32_e32 v7, 4, v67
	v_lshlrev_b32_e32 v2, 4, v65
	global_load_dwordx4 v[76:79], v7, s[0:1]
	global_load_dwordx4 v[80:83], v2, s[0:1]
	v_lshlrev_b32_e32 v7, 4, v63
	global_load_dwordx4 v[84:87], v7, s[0:1]
	v_mul_u32_u24_e32 v2, 26, v3
	v_add_lshl_u32 v203, v2, v4, 4
	v_mad_legacy_u16 v2, v5, 26, v6
	v_lshlrev_b32_e32 v204, 4, v2
	s_load_dwordx4 s[8:11], s[4:5], 0x0
	s_waitcnt lgkmcnt(0)
	s_barrier
	s_waitcnt vmcnt(4)
	v_mul_f64 v[6:7], v[42:43], v[74:75]
	v_mul_f64 v[8:9], v[40:41], v[74:75]
	s_waitcnt vmcnt(3)
	v_mul_f64 v[10:11], v[38:39], v[70:71]
	v_mul_f64 v[12:13], v[36:37], v[70:71]
	v_fma_f64 v[6:7], v[40:41], v[72:73], -v[6:7]
	v_fmac_f64_e32 v[8:9], v[42:43], v[72:73]
	v_fma_f64 v[10:11], v[36:37], v[68:69], -v[10:11]
	v_fmac_f64_e32 v[12:13], v[38:39], v[68:69]
	v_accvgpr_write_b32 a8, v72
	v_accvgpr_write_b32 a4, v68
	;; [unrolled: 1-line block ×8, first 2 shown]
	s_waitcnt vmcnt(2)
	v_mul_f64 v[2:3], v[58:59], v[78:79]
	v_mul_f64 v[4:5], v[56:57], v[78:79]
	s_waitcnt vmcnt(1)
	v_mul_f64 v[18:19], v[46:47], v[82:83]
	s_waitcnt vmcnt(0)
	v_mul_f64 v[14:15], v[50:51], v[86:87]
	v_fma_f64 v[2:3], v[56:57], v[76:77], -v[2:3]
	v_fmac_f64_e32 v[4:5], v[58:59], v[76:77]
	v_mul_f64 v[16:17], v[48:49], v[86:87]
	v_mul_f64 v[60:61], v[44:45], v[82:83]
	v_fma_f64 v[14:15], v[48:49], v[84:85], -v[14:15]
	v_fma_f64 v[18:19], v[44:45], v[80:81], -v[18:19]
	v_add_f64 v[104:105], v[52:53], -v[2:3]
	v_add_f64 v[106:107], v[54:55], -v[4:5]
	;; [unrolled: 1-line block ×6, first 2 shown]
	v_fmac_f64_e32 v[16:17], v[50:51], v[84:85]
	v_fmac_f64_e32 v[60:61], v[46:47], v[80:81]
	v_add_f64 v[10:11], v[28:29], -v[14:15]
	v_add_f64 v[14:15], v[32:33], -v[18:19]
	v_fma_f64 v[18:19], v[20:21], 2.0, -v[2:3]
	v_fma_f64 v[20:21], v[22:23], 2.0, -v[4:5]
	;; [unrolled: 1-line block ×4, first 2 shown]
	ds_write_b128 v203, v[2:5] offset:208
	ds_write_b128 v203, v[18:21]
	ds_write_b128 v204, v[22:25]
	ds_write_b128 v204, v[6:9] offset:208
	v_mad_legacy_u16 v2, v62, 26, v63
	v_accvgpr_write_b32 a12, v76
	v_accvgpr_write_b32 a22, v84
	;; [unrolled: 1-line block ×3, first 2 shown]
	v_add_f64 v[12:13], v[30:31], -v[16:17]
	v_add_f64 v[16:17], v[34:35], -v[60:61]
	v_lshlrev_b32_e32 v205, 4, v2
	v_mad_legacy_u16 v2, v64, 26, v65
	v_accvgpr_write_b32 a13, v77
	v_accvgpr_write_b32 a14, v78
	;; [unrolled: 1-line block ×9, first 2 shown]
	v_fma_f64 v[26:27], v[28:29], 2.0, -v[10:11]
	v_fma_f64 v[28:29], v[30:31], 2.0, -v[12:13]
	;; [unrolled: 1-line block ×4, first 2 shown]
	v_lshlrev_b32_e32 v64, 4, v2
	ds_write_b128 v205, v[26:29]
	ds_write_b128 v205, v[10:13] offset:208
	ds_write_b128 v64, v[30:33]
	ds_write_b128 v64, v[14:17] offset:208
	s_and_saveexec_b64 s[4:5], s[2:3]
	s_cbranch_execz .LBB0_11
; %bb.10:
	v_mad_legacy_u16 v6, v66, 26, v67
	v_fma_f64 v[4:5], v[54:55], 2.0, -v[106:107]
	v_fma_f64 v[2:3], v[52:53], 2.0, -v[104:105]
	v_lshlrev_b32_e32 v6, 4, v6
	ds_write_b128 v6, v[2:5]
	ds_write_b128 v6, v[104:107] offset:208
.LBB0_11:
	s_or_b64 exec, exec, s[4:5]
	v_mul_lo_u16_sdwa v2, v202, s14 dst_sel:DWORD dst_unused:UNUSED_PAD src0_sel:BYTE_0 src1_sel:DWORD
	v_lshrrev_b16_e32 v52, 11, v2
	v_lshrrev_b32_e32 v53, 19, v1
	v_mul_lo_u16_e32 v4, 26, v52
	v_mul_lo_u16_e32 v1, 26, v53
	v_lshrrev_b32_e32 v56, 19, v0
	v_sub_u16_e32 v54, v150, v1
	v_sub_u16_e32 v1, v202, v4
	v_mul_lo_u16_e32 v0, 26, v56
	v_lshlrev_b16_e32 v20, 5, v54
	v_mov_b32_e32 v21, 0
	v_and_b32_e32 v55, 0xff, v1
	v_sub_u16_e32 v57, v148, v0
	v_lshl_add_u64 v[2:3], s[0:1], 0, v[20:21]
	v_lshlrev_b32_e32 v1, 5, v55
	v_lshlrev_b16_e32 v20, 5, v57
	s_waitcnt lgkmcnt(0)
	s_barrier
	global_load_dwordx4 v[58:61], v[2:3], off offset:224
	global_load_dwordx4 v[68:71], v[2:3], off offset:208
	global_load_dwordx4 v[76:79], v1, s[0:1] offset:208
	global_load_dwordx4 v[72:75], v1, s[0:1] offset:224
	v_lshl_add_u64 v[0:1], s[0:1], 0, v[20:21]
	global_load_dwordx4 v[84:87], v[0:1], off offset:208
	global_load_dwordx4 v[80:83], v[0:1], off offset:224
	ds_read_b128 v[0:3], v200
	ds_read_b128 v[4:7], v200 offset:2912
	ds_read_b128 v[8:11], v200 offset:17472
	;; [unrolled: 1-line block ×8, first 2 shown]
	s_mov_b32 s4, 0xe8584caa
	s_mov_b32 s5, 0x3febb67a
	;; [unrolled: 1-line block ×4, first 2 shown]
	v_mul_u32_u24_e32 v20, 0x4e, v52
	v_add_lshl_u32 v65, v20, v55, 4
	s_waitcnt lgkmcnt(0)
	s_barrier
	s_waitcnt lgkmcnt(0)
                                        ; implicit-def: $vgpr144_vgpr145
	s_waitcnt vmcnt(5)
	v_mul_f64 v[40:41], v[12:13], v[60:61]
	s_waitcnt vmcnt(4)
	v_mul_f64 v[34:35], v[24:25], v[70:71]
	v_mul_f64 v[36:37], v[22:23], v[70:71]
	s_waitcnt vmcnt(3)
	v_mul_f64 v[42:43], v[18:19], v[78:79]
	v_mul_f64 v[38:39], v[14:15], v[60:61]
	;; [unrolled: 1-line block ×3, first 2 shown]
	s_waitcnt vmcnt(2)
	v_mul_f64 v[46:47], v[10:11], v[74:75]
	v_fma_f64 v[22:23], v[22:23], v[68:69], -v[34:35]
	v_fmac_f64_e32 v[36:37], v[24:25], v[68:69]
	v_fmac_f64_e32 v[40:41], v[14:15], v[58:59]
	s_waitcnt vmcnt(1)
	v_mul_f64 v[14:15], v[28:29], v[86:87]
	v_mul_f64 v[34:35], v[26:27], v[86:87]
	s_waitcnt vmcnt(0)
	v_mul_f64 v[24:25], v[32:33], v[82:83]
	v_fma_f64 v[16:17], v[16:17], v[76:77], -v[42:43]
	v_mul_f64 v[48:49], v[8:9], v[74:75]
	v_fma_f64 v[12:13], v[12:13], v[58:59], -v[38:39]
	v_mul_f64 v[38:39], v[30:31], v[82:83]
	v_fmac_f64_e32 v[44:45], v[18:19], v[76:77]
	v_fma_f64 v[18:19], v[8:9], v[72:73], -v[46:47]
	v_fma_f64 v[42:43], v[26:27], v[84:85], -v[14:15]
	v_fmac_f64_e32 v[34:35], v[28:29], v[84:85]
	v_fma_f64 v[30:31], v[30:31], v[80:81], -v[24:25]
	v_add_f64 v[8:9], v[4:5], v[22:23]
	v_add_f64 v[28:29], v[0:1], v[16:17]
	v_fmac_f64_e32 v[48:49], v[10:11], v[72:73]
	v_fmac_f64_e32 v[38:39], v[32:33], v[80:81]
	v_add_f64 v[10:11], v[22:23], v[12:13]
	v_add_f64 v[26:27], v[36:37], v[40:41]
	v_add_f64 v[22:23], v[22:23], -v[12:13]
	v_add_f64 v[32:33], v[16:17], v[18:19]
	v_add_f64 v[8:9], v[8:9], v[12:13]
	;; [unrolled: 1-line block ×4, first 2 shown]
	v_add_f64 v[24:25], v[36:37], -v[40:41]
	v_add_f64 v[14:15], v[6:7], v[36:37]
	v_add_f64 v[36:37], v[44:45], -v[48:49]
	v_add_f64 v[46:47], v[2:3], v[44:45]
	v_add_f64 v[44:45], v[44:45], v[48:49]
	v_fmac_f64_e32 v[6:7], -0.5, v[26:27]
	v_fmac_f64_e32 v[0:1], -0.5, v[32:33]
	v_add_f64 v[26:27], v[112:113], v[42:43]
	v_fmac_f64_e32 v[112:113], -0.5, v[28:29]
	v_add_f64 v[28:29], v[34:35], -v[38:39]
	v_add_f64 v[32:33], v[34:35], v[38:39]
	v_add_f64 v[50:51], v[16:17], -v[18:19]
	v_fmac_f64_e32 v[4:5], -0.5, v[10:11]
	v_fmac_f64_e32 v[2:3], -0.5, v[44:45]
	v_add_f64 v[26:27], v[26:27], v[30:31]
	v_fma_f64 v[108:109], s[4:5], v[28:29], v[112:113]
	v_fmac_f64_e32 v[112:113], s[14:15], v[28:29]
	v_add_f64 v[28:29], v[114:115], v[34:35]
	v_fmac_f64_e32 v[114:115], -0.5, v[32:33]
	v_add_f64 v[30:31], v[42:43], -v[30:31]
	v_add_f64 v[10:11], v[14:15], v[40:41]
	v_add_f64 v[14:15], v[46:47], v[48:49]
	v_fma_f64 v[16:17], s[4:5], v[24:25], v[4:5]
	v_fmac_f64_e32 v[4:5], s[14:15], v[24:25]
	v_fma_f64 v[18:19], s[14:15], v[22:23], v[6:7]
	v_fmac_f64_e32 v[6:7], s[4:5], v[22:23]
	;; [unrolled: 2-line block ×5, first 2 shown]
	s_movk_i32 s4, 0x4e
	ds_write_b128 v65, v[12:15]
	ds_write_b128 v65, v[22:25] offset:416
	ds_write_b128 v65, v[0:3] offset:832
	v_mad_legacy_u16 v0, v53, s4, v54
	v_lshlrev_b32_e32 v0, 4, v0
	ds_write_b128 v0, v[8:11]
	ds_write_b128 v0, v[16:19] offset:416
	v_accvgpr_write_b32 a77, v0
	ds_write_b128 v0, v[4:7] offset:832
	v_mad_legacy_u16 v0, v56, s4, v57
	v_add_f64 v[28:29], v[28:29], v[38:39]
	v_lshlrev_b32_e32 v0, 4, v0
	ds_write_b128 v0, v[26:29]
	ds_write_b128 v0, v[108:111] offset:416
	ds_write_b128 v0, v[112:115] offset:832
	s_waitcnt lgkmcnt(0)
	s_barrier
	ds_read_b128 v[116:119], v200
	ds_read_b128 v[140:143], v200 offset:3744
	ds_read_b128 v[136:139], v200 offset:7488
	;; [unrolled: 1-line block ×6, first 2 shown]
	v_accvgpr_write_b32 a48, v68
	v_accvgpr_write_b32 a44, v58
	;; [unrolled: 1-line block ×25, first 2 shown]
	v_cmp_gt_u16_e64 s[4:5], 52, v202
	s_and_saveexec_b64 s[14:15], s[4:5]
	s_cbranch_execz .LBB0_13
; %bb.12:
	ds_read_b128 v[108:111], v200 offset:2912
	ds_read_b128 v[112:115], v200 offset:6656
	;; [unrolled: 1-line block ×7, first 2 shown]
.LBB0_13:
	s_or_b64 exec, exec, s[14:15]
	v_lshrrev_b16_e32 v0, 1, v202
	v_and_b32_e32 v0, 0x7f, v0
	v_mul_lo_u16_e32 v0, 0xd3, v0
	v_lshrrev_b16_e32 v52, 13, v0
	v_lshrrev_b16_e32 v0, 1, v150
	v_mul_u32_u24_e32 v0, 0x6907, v0
	v_lshrrev_b32_e32 v0, 20, v0
	v_mul_lo_u16_e32 v0, 0x4e, v0
	v_sub_u16_e32 v53, v150, v0
	v_mul_lo_u16_e32 v20, 0x60, v53
	v_mul_lo_u16_e32 v2, 0x4e, v52
	v_lshl_add_u64 v[0:1], s[0:1], 0, v[20:21]
	v_sub_u16_e32 v2, v202, v2
	global_load_dwordx4 v[48:51], v[0:1], off offset:1056
	global_load_dwordx4 v[152:155], v[0:1], off offset:1040
	;; [unrolled: 1-line block ×4, first 2 shown]
	v_and_b32_e32 v54, 0xff, v2
	s_movk_i32 s14, 0x60
	global_load_dwordx4 v[156:159], v[0:1], off offset:1120
	global_load_dwordx4 v[160:163], v[0:1], off offset:1104
	v_mov_b64_e32 v[0:1], s[0:1]
	v_mad_u64_u32 v[0:1], s[14:15], v54, s14, v[0:1]
	global_load_dwordx4 v[88:91], v[0:1], off offset:1040
	global_load_dwordx4 v[84:87], v[0:1], off offset:1056
	;; [unrolled: 1-line block ×6, first 2 shown]
	s_mov_b32 s18, 0x37e14327
	s_mov_b32 s14, 0x36b3c0b5
	;; [unrolled: 1-line block ×20, first 2 shown]
	s_waitcnt lgkmcnt(0)
	s_barrier
	s_waitcnt vmcnt(11)
	v_mul_f64 v[4:5], v[106:107], v[50:51]
	v_mul_f64 v[6:7], v[104:105], v[50:51]
	s_waitcnt vmcnt(8)
	v_mul_f64 v[8:9], v[102:103], v[62:63]
	v_mul_f64 v[10:11], v[98:99], v[58:59]
	s_waitcnt vmcnt(5)
	v_mul_f64 v[16:17], v[142:143], v[90:91]
	s_waitcnt vmcnt(4)
	v_mul_f64 v[20:21], v[138:139], v[86:87]
	v_accvgpr_write_b32 a26, v48
	v_mul_f64 v[12:13], v[94:95], v[162:163]
	s_waitcnt vmcnt(1)
	v_mul_f64 v[32:33], v[126:127], v[74:75]
	s_waitcnt vmcnt(0)
	v_mul_f64 v[44:45], v[122:123], v[70:71]
	v_mul_f64 v[40:41], v[92:93], v[162:163]
	v_mul_f64 v[14:15], v[146:147], v[158:159]
	v_mul_f64 v[18:19], v[140:141], v[90:91]
	v_mul_f64 v[22:23], v[136:137], v[86:87]
	v_mul_f64 v[24:25], v[134:135], v[82:83]
	v_mul_f64 v[26:27], v[132:133], v[82:83]
	v_mul_f64 v[28:29], v[130:131], v[78:79]
	v_mul_f64 v[30:31], v[128:129], v[78:79]
	v_mul_f64 v[34:35], v[124:125], v[74:75]
	v_mul_f64 v[46:47], v[120:121], v[70:71]
	v_fma_f64 v[4:5], v[104:105], v[48:49], -v[4:5]
	v_accvgpr_write_b32 a27, v49
	v_accvgpr_write_b32 a28, v50
	;; [unrolled: 1-line block ×3, first 2 shown]
	v_fmac_f64_e32 v[6:7], v[106:107], v[48:49]
	v_fma_f64 v[48:49], v[100:101], v[60:61], -v[8:9]
	v_fma_f64 v[50:51], v[96:97], v[56:57], -v[10:11]
	;; [unrolled: 1-line block ×7, first 2 shown]
	v_fmac_f64_e32 v[40:41], v[94:95], v[160:161]
	v_fma_f64 v[94:95], v[144:145], v[156:157], -v[14:15]
	v_fmac_f64_e32 v[18:19], v[142:143], v[88:89]
	v_fmac_f64_e32 v[22:23], v[138:139], v[84:85]
	v_fma_f64 v[12:13], v[132:133], v[80:81], -v[24:25]
	v_fmac_f64_e32 v[26:27], v[134:135], v[80:81]
	v_fma_f64 v[14:15], v[128:129], v[76:77], -v[28:29]
	v_fmac_f64_e32 v[30:31], v[130:131], v[76:77]
	v_fmac_f64_e32 v[34:35], v[126:127], v[72:73]
	;; [unrolled: 1-line block ×3, first 2 shown]
	v_add_f64 v[24:25], v[8:9], v[20:21]
	v_add_f64 v[8:9], v[8:9], -v[20:21]
	v_add_f64 v[20:21], v[10:11], v[16:17]
	v_add_f64 v[28:29], v[18:19], v[46:47]
	;; [unrolled: 1-line block ×3, first 2 shown]
	v_add_f64 v[10:11], v[10:11], -v[16:17]
	v_add_f64 v[16:17], v[22:23], -v[34:35]
	v_add_f64 v[22:23], v[12:13], v[14:15]
	v_add_f64 v[34:35], v[26:27], v[30:31]
	v_add_f64 v[12:13], v[14:15], -v[12:13]
	v_add_f64 v[14:15], v[30:31], -v[26:27]
	v_add_f64 v[26:27], v[20:21], v[24:25]
	v_mul_f64 v[38:39], v[96:97], v[58:59]
	v_add_f64 v[30:31], v[32:33], v[28:29]
	v_add_f64 v[44:45], v[20:21], -v[24:25]
	v_add_f64 v[24:25], v[24:25], -v[22:23]
	;; [unrolled: 1-line block ×3, first 2 shown]
	v_add_f64 v[96:97], v[12:13], v[10:11]
	v_add_f64 v[22:23], v[22:23], v[26:27]
	v_mul_f64 v[0:1], v[114:115], v[154:155]
	v_mul_f64 v[36:37], v[100:101], v[62:63]
	v_add_f64 v[100:101], v[12:13], -v[10:11]
	v_add_f64 v[12:13], v[8:9], -v[12:13]
	;; [unrolled: 1-line block ×3, first 2 shown]
	v_add_f64 v[26:27], v[34:35], v[30:31]
	v_add_f64 v[30:31], v[96:97], v[8:9]
	;; [unrolled: 1-line block ×3, first 2 shown]
	v_mul_f64 v[2:3], v[112:113], v[154:155]
	v_fma_f64 v[0:1], v[112:113], v[152:153], -v[0:1]
	v_fmac_f64_e32 v[36:37], v[102:103], v[60:61]
	v_fmac_f64_e32 v[38:39], v[98:99], v[56:57]
	v_add_f64 v[18:19], v[18:19], -v[46:47]
	v_add_f64 v[46:47], v[32:33], -v[28:29]
	;; [unrolled: 1-line block ×4, first 2 shown]
	v_add_f64 v[98:99], v[14:15], v[16:17]
	v_add_f64 v[102:103], v[14:15], -v[16:17]
	v_add_f64 v[10:11], v[118:119], v[26:27]
	v_mov_b64_e32 v[112:113], v[8:9]
	v_add_f64 v[14:15], v[18:19], -v[14:15]
	v_add_f64 v[16:17], v[16:17], -v[18:19]
	v_add_f64 v[18:19], v[98:99], v[18:19]
	v_mul_f64 v[24:25], v[24:25], s[18:19]
	v_mul_f64 v[28:29], v[28:29], s[18:19]
	;; [unrolled: 1-line block ×6, first 2 shown]
	v_fmac_f64_e32 v[112:113], s[24:25], v[22:23]
	v_mov_b64_e32 v[22:23], v[10:11]
	v_mul_f64 v[42:43], v[144:145], v[158:159]
	v_fmac_f64_e32 v[22:23], s[24:25], v[26:27]
	v_fma_f64 v[26:27], v[44:45], s[26:27], -v[34:35]
	v_fma_f64 v[34:35], v[46:47], s[26:27], -v[96:97]
	;; [unrolled: 1-line block ×3, first 2 shown]
	v_fmac_f64_e32 v[24:25], s[14:15], v[20:21]
	v_fma_f64 v[20:21], v[46:47], s[28:29], -v[28:29]
	v_fma_f64 v[46:47], v[16:17], s[20:21], -v[100:101]
	v_fmac_f64_e32 v[2:3], v[114:115], v[152:153]
	v_fmac_f64_e32 v[42:43], v[146:147], v[156:157]
	v_mul_f64 v[102:103], v[104:105], s[20:21]
	v_mul_f64 v[106:107], v[16:17], s[20:21]
	v_fmac_f64_e32 v[28:29], s[14:15], v[32:33]
	v_fma_f64 v[32:33], v[104:105], s[20:21], -v[98:99]
	v_add_f64 v[104:105], v[24:25], v[112:113]
	v_add_f64 v[24:25], v[26:27], v[112:113]
	v_fmac_f64_e32 v[46:47], s[34:35], v[18:19]
	v_fmac_f64_e32 v[98:99], s[30:31], v[12:13]
	;; [unrolled: 1-line block ×3, first 2 shown]
	v_fma_f64 v[96:97], v[12:13], s[36:37], -v[102:103]
	v_fma_f64 v[102:103], v[14:15], s[36:37], -v[106:107]
	v_add_f64 v[106:107], v[28:29], v[22:23]
	v_add_f64 v[26:27], v[34:35], v[22:23]
	v_add_f64 v[28:29], v[44:45], v[112:113]
	v_add_f64 v[34:35], v[20:21], v[22:23]
	v_add_f64 v[20:21], v[24:25], -v[46:47]
	v_add_f64 v[24:25], v[46:47], v[24:25]
	v_add_f64 v[44:45], v[0:1], v[94:95]
	;; [unrolled: 1-line block ×3, first 2 shown]
	v_add_f64 v[0:1], v[0:1], -v[94:95]
	v_add_f64 v[2:3], v[2:3], -v[42:43]
	v_add_f64 v[42:43], v[4:5], v[92:93]
	v_add_f64 v[94:95], v[6:7], v[40:41]
	v_fmac_f64_e32 v[98:99], s[34:35], v[30:31]
	v_fmac_f64_e32 v[100:101], s[34:35], v[18:19]
	;; [unrolled: 1-line block ×5, first 2 shown]
	v_add_f64 v[4:5], v[4:5], -v[92:93]
	v_add_f64 v[6:7], v[6:7], -v[40:41]
	v_add_f64 v[40:41], v[48:49], v[50:51]
	v_add_f64 v[92:93], v[36:37], v[38:39]
	v_add_f64 v[48:49], v[50:51], -v[48:49]
	v_add_f64 v[36:37], v[38:39], -v[36:37]
	v_add_f64 v[38:39], v[42:43], v[44:45]
	v_add_f64 v[50:51], v[94:95], v[46:47]
	;; [unrolled: 1-line block ×3, first 2 shown]
	v_add_f64 v[14:15], v[106:107], -v[98:99]
	v_add_f64 v[16:17], v[102:103], v[28:29]
	v_add_f64 v[18:19], v[34:35], -v[96:97]
	v_add_f64 v[22:23], v[32:33], v[26:27]
	v_add_f64 v[26:27], v[26:27], -v[32:33]
	v_add_f64 v[28:29], v[28:29], -v[102:103]
	v_add_f64 v[30:31], v[96:97], v[34:35]
	v_add_f64 v[32:33], v[104:105], -v[100:101]
	v_add_f64 v[34:35], v[98:99], v[106:107]
	v_add_f64 v[96:97], v[42:43], -v[44:45]
	v_add_f64 v[98:99], v[94:95], -v[46:47]
	;; [unrolled: 1-line block ×6, first 2 shown]
	v_add_f64 v[94:95], v[48:49], v[4:5]
	v_add_f64 v[102:103], v[36:37], v[6:7]
	v_add_f64 v[104:105], v[48:49], -v[4:5]
	v_add_f64 v[106:107], v[36:37], -v[6:7]
	;; [unrolled: 1-line block ×3, first 2 shown]
	v_add_f64 v[38:39], v[40:41], v[38:39]
	v_add_f64 v[40:41], v[92:93], v[50:51]
	v_add_f64 v[48:49], v[0:1], -v[48:49]
	v_add_f64 v[36:37], v[2:3], -v[36:37]
	;; [unrolled: 1-line block ×3, first 2 shown]
	v_add_f64 v[50:51], v[94:95], v[0:1]
	v_add_f64 v[102:103], v[102:103], v[2:3]
	;; [unrolled: 1-line block ×4, first 2 shown]
	v_mul_f64 v[2:3], v[44:45], s[18:19]
	v_mul_f64 v[44:45], v[46:47], s[18:19]
	;; [unrolled: 1-line block ×7, first 2 shown]
	v_fma_f64 v[38:39], s[24:25], v[38:39], v[92:93]
	v_fma_f64 v[40:41], s[24:25], v[40:41], v[94:95]
	;; [unrolled: 1-line block ×3, first 2 shown]
	v_fma_f64 v[46:47], v[96:97], s[26:27], -v[46:47]
	v_fma_f64 v[108:109], v[98:99], s[26:27], -v[108:109]
	;; [unrolled: 1-line block ×4, first 2 shown]
	v_fmac_f64_e32 v[44:45], s[14:15], v[100:101]
	v_fma_f64 v[2:3], s[30:31], v[48:49], v[104:105]
	v_fma_f64 v[100:101], v[4:5], s[20:21], -v[104:105]
	v_fma_f64 v[104:105], v[6:7], s[20:21], -v[0:1]
	v_fmac_f64_e32 v[0:1], s[30:31], v[36:37]
	v_fma_f64 v[36:37], v[36:37], s[36:37], -v[110:111]
	v_mul_f64 v[106:107], v[4:5], s[20:21]
	v_add_f64 v[4:5], v[42:43], v[38:39]
	v_add_f64 v[6:7], v[44:45], v[40:41]
	;; [unrolled: 1-line block ×4, first 2 shown]
	v_fmac_f64_e32 v[2:3], s[34:35], v[50:51]
	v_fmac_f64_e32 v[36:37], s[34:35], v[102:103]
	;; [unrolled: 1-line block ×3, first 2 shown]
	v_add_f64 v[120:121], v[36:37], v[38:39]
	v_add_f64 v[132:133], v[38:39], -v[36:37]
	v_add_f64 v[38:39], v[2:3], v[6:7]
	v_add_f64 v[36:37], v[4:5], -v[0:1]
	v_accvgpr_write_b32 a85, v39
	v_accvgpr_write_b32 a84, v38
	;; [unrolled: 1-line block ×4, first 2 shown]
	v_mul_u32_u24_e32 v36, 0x222, v52
	v_fma_f64 v[48:49], v[48:49], s[36:37], -v[106:107]
	v_add_lshl_u32 v36, v36, v54, 4
	v_accvgpr_write_b32 a40, v152
	v_accvgpr_write_b32 a34, v60
	;; [unrolled: 1-line block ×5, first 2 shown]
	v_add_f64 v[44:45], v[108:109], v[40:41]
	v_add_f64 v[40:41], v[98:99], v[40:41]
	v_fmac_f64_e32 v[100:101], s[34:35], v[50:51]
	v_fmac_f64_e32 v[104:105], s[34:35], v[102:103]
	;; [unrolled: 1-line block ×3, first 2 shown]
	ds_write_b128 v36, v[8:11]
	ds_write_b128 v36, v[12:15] offset:1248
	ds_write_b128 v36, v[16:19] offset:2496
	;; [unrolled: 1-line block ×5, first 2 shown]
	v_lshlrev_b32_e32 v8, 4, v53
	v_accvgpr_write_b32 a41, v153
	v_accvgpr_write_b32 a42, v154
	;; [unrolled: 1-line block ×15, first 2 shown]
	v_add_f64 v[122:123], v[40:41], -v[48:49]
	v_add_f64 v[124:125], v[42:43], -v[104:105]
	v_add_f64 v[126:127], v[100:101], v[44:45]
	v_add_f64 v[128:129], v[104:105], v[42:43]
	v_add_f64 v[130:131], v[44:45], -v[100:101]
	v_add_f64 v[134:135], v[48:49], v[40:41]
	v_accvgpr_write_b32 a80, v36
	v_accvgpr_write_b32 a79, v8
	ds_write_b128 v36, v[32:35] offset:7488
	s_and_saveexec_b64 s[14:15], s[4:5]
	s_cbranch_execz .LBB0_15
; %bb.14:
	v_add_f64 v[0:1], v[0:1], v[4:5]
	v_accvgpr_read_b32 v4, a79
	v_add_f64 v[2:3], v[6:7], -v[2:3]
	ds_write_b128 v4, v[92:95] offset:17472
	ds_write_b128 v4, v[0:3] offset:18720
	;; [unrolled: 1-line block ×7, first 2 shown]
.LBB0_15:
	s_or_b64 exec, exec, s[14:15]
	v_lshlrev_b32_e32 v0, 5, v202
	v_mov_b32_e32 v1, 0
	v_lshl_add_u64 v[2:3], s[0:1], 0, v[0:1]
	s_mov_b64 s[14:15], 0x2150
	s_movk_i32 s18, 0x2000
	v_lshl_add_u64 v[4:5], v[2:3], 0, s[14:15]
	v_add_co_u32_e32 v2, vcc, s18, v2
	s_waitcnt lgkmcnt(0)
	s_nop 0
	v_addc_co_u32_e32 v3, vcc, 0, v3, vcc
	s_barrier
	global_load_dwordx4 v[92:95], v[2:3], off offset:336
	global_load_dwordx4 v[96:99], v[4:5], off offset:16
	v_lshlrev_b64 v[2:3], 5, v[150:151]
	v_lshl_add_u64 v[2:3], s[0:1], 0, v[2:3]
	v_lshl_add_u64 v[4:5], v[2:3], 0, s[14:15]
	v_add_co_u32_e32 v2, vcc, s18, v2
	s_nop 1
	v_addc_co_u32_e32 v3, vcc, 0, v3, vcc
	global_load_dwordx4 v[100:103], v[2:3], off offset:336
	global_load_dwordx4 v[104:107], v[4:5], off offset:16
	v_lshlrev_b64 v[2:3], 5, v[148:149]
	v_lshl_add_u64 v[2:3], s[0:1], 0, v[2:3]
	v_add_co_u32_e32 v4, vcc, s18, v2
	s_mov_b32 s0, 0xe8584caa
	s_nop 0
	v_addc_co_u32_e32 v5, vcc, 0, v3, vcc
	v_lshl_add_u64 v[2:3], v[2:3], 0, s[14:15]
	global_load_dwordx4 v[108:111], v[4:5], off offset:336
	global_load_dwordx4 v[112:115], v[2:3], off offset:16
	ds_read_b128 v[136:139], v200
	ds_read_b128 v[140:143], v200 offset:2912
	ds_read_b128 v[2:5], v200 offset:17472
	;; [unrolled: 1-line block ×8, first 2 shown]
	s_mov_b32 s1, 0x3febb67a
	s_mov_b32 s15, 0xbfebb67a
	;; [unrolled: 1-line block ×3, first 2 shown]
	s_waitcnt vmcnt(5) lgkmcnt(4)
	v_mul_f64 v[26:27], v[12:13], v[94:95]
	s_waitcnt vmcnt(4)
	v_mul_f64 v[32:33], v[2:3], v[98:99]
	v_mul_f64 v[28:29], v[10:11], v[94:95]
	;; [unrolled: 1-line block ×3, first 2 shown]
	v_fma_f64 v[10:11], v[10:11], v[92:93], -v[26:27]
	v_fmac_f64_e32 v[32:33], v[4:5], v[96:97]
	v_fma_f64 v[2:3], v[2:3], v[96:97], -v[30:31]
	v_fmac_f64_e32 v[28:29], v[12:13], v[92:93]
	s_waitcnt vmcnt(3) lgkmcnt(2)
	v_mul_f64 v[34:35], v[16:17], v[102:103]
	s_waitcnt vmcnt(2)
	v_mul_f64 v[38:39], v[8:9], v[106:107]
	v_mul_f64 v[36:37], v[14:15], v[102:103]
	;; [unrolled: 1-line block ×3, first 2 shown]
	v_fma_f64 v[4:5], v[14:15], v[100:101], -v[34:35]
	v_fma_f64 v[6:7], v[6:7], v[104:105], -v[38:39]
	v_fmac_f64_e32 v[36:37], v[16:17], v[100:101]
	v_fmac_f64_e32 v[40:41], v[8:9], v[104:105]
	v_add_f64 v[14:15], v[136:137], v[10:11]
	v_add_f64 v[26:27], v[4:5], v[6:7]
	;; [unrolled: 1-line block ×3, first 2 shown]
	s_waitcnt vmcnt(0) lgkmcnt(0)
	v_mul_f64 v[48:49], v[22:23], v[114:115]
	v_mul_f64 v[46:47], v[24:25], v[114:115]
	v_fmac_f64_e32 v[48:49], v[24:25], v[112:113]
	v_add_f64 v[10:11], v[10:11], -v[2:3]
	v_add_f64 v[24:25], v[140:141], v[4:5]
	v_add_f64 v[148:149], v[14:15], v[2:3]
	v_fmac_f64_e32 v[140:141], -0.5, v[26:27]
	v_add_f64 v[2:3], v[36:37], -v[40:41]
	v_fma_f64 v[160:161], s[0:1], v[2:3], v[140:141]
	v_fmac_f64_e32 v[140:141], s[14:15], v[2:3]
	v_add_f64 v[2:3], v[142:143], v[36:37]
	v_mul_f64 v[42:43], v[20:21], v[110:111]
	v_add_f64 v[158:159], v[2:3], v[40:41]
	v_add_f64 v[2:3], v[36:37], v[40:41]
	v_fma_f64 v[8:9], v[18:19], v[108:109], -v[42:43]
	v_fmac_f64_e32 v[142:143], -0.5, v[2:3]
	v_add_f64 v[2:3], v[4:5], -v[6:7]
	v_mul_f64 v[44:45], v[18:19], v[110:111]
	v_fma_f64 v[12:13], v[22:23], v[112:113], -v[46:47]
	v_fma_f64 v[162:163], s[14:15], v[2:3], v[142:143]
	v_fmac_f64_e32 v[142:143], s[0:1], v[2:3]
	v_add_f64 v[2:3], v[144:145], v[8:9]
	v_fmac_f64_e32 v[44:45], v[20:21], v[108:109]
	v_add_f64 v[164:165], v[2:3], v[12:13]
	v_add_f64 v[2:3], v[8:9], v[12:13]
	v_fmac_f64_e32 v[144:145], -0.5, v[2:3]
	v_add_f64 v[2:3], v[44:45], -v[48:49]
	v_fma_f64 v[168:169], s[0:1], v[2:3], v[144:145]
	v_fmac_f64_e32 v[144:145], s[14:15], v[2:3]
	v_add_f64 v[2:3], v[146:147], v[44:45]
	v_add_f64 v[22:23], v[28:29], v[32:33]
	;; [unrolled: 1-line block ×4, first 2 shown]
	v_add_f64 v[18:19], v[28:29], -v[32:33]
	v_add_f64 v[20:21], v[138:139], v[28:29]
	v_fmac_f64_e32 v[136:137], -0.5, v[16:17]
	v_fmac_f64_e32 v[138:139], -0.5, v[22:23]
	;; [unrolled: 1-line block ×3, first 2 shown]
	v_add_f64 v[2:3], v[8:9], -v[12:13]
	v_add_f64 v[150:151], v[20:21], v[32:33]
	v_add_f64 v[156:157], v[24:25], v[6:7]
	v_fma_f64 v[152:153], s[0:1], v[18:19], v[136:137]
	v_fmac_f64_e32 v[136:137], s[14:15], v[18:19]
	v_fma_f64 v[154:155], s[14:15], v[10:11], v[138:139]
	v_fmac_f64_e32 v[138:139], s[0:1], v[10:11]
	;; [unrolled: 2-line block ×3, first 2 shown]
	ds_write_b128 v200, v[148:151]
	ds_write_b128 v200, v[152:155] offset:8736
	ds_write_b128 v200, v[136:139] offset:17472
	;; [unrolled: 1-line block ×8, first 2 shown]
	s_waitcnt lgkmcnt(0)
	s_barrier
	s_and_saveexec_b64 s[0:1], s[6:7]
	s_cbranch_execz .LBB0_17
; %bb.16:
	v_mov_b32_e32 v0, v201
	v_mov_b32_e32 v201, v1
	v_lshl_add_u64 v[176:177], s[16:17], 0, v[200:201]
	v_add_co_u32_e32 v4, vcc, 0x6000, v176
	v_mov_b32_e32 v201, v0
	s_nop 0
	v_addc_co_u32_e32 v5, vcc, 0, v177, vcc
	global_load_dwordx4 v[4:7], v[4:5], off offset:1632
	ds_read_b128 v[0:3], v200
	ds_read_b128 v[172:175], v200 offset:24192
	s_mov_b64 s[14:15], 0x6660
	v_lshl_add_u64 v[12:13], v[176:177], 0, s[14:15]
	s_movk_i32 s14, 0x7000
	s_waitcnt vmcnt(0) lgkmcnt(1)
	v_mul_f64 v[8:9], v[2:3], v[6:7]
	v_mul_f64 v[10:11], v[0:1], v[6:7]
	v_fma_f64 v[8:9], v[0:1], v[4:5], -v[8:9]
	v_fmac_f64_e32 v[10:11], v[2:3], v[4:5]
	global_load_dwordx4 v[4:7], v[12:13], off offset:2016
	ds_read_b128 v[0:3], v200 offset:2016
	ds_write_b128 v200, v[8:11]
	s_waitcnt vmcnt(0) lgkmcnt(1)
	v_mul_f64 v[8:9], v[2:3], v[6:7]
	v_mul_f64 v[10:11], v[0:1], v[6:7]
	v_fma_f64 v[8:9], v[0:1], v[4:5], -v[8:9]
	v_fmac_f64_e32 v[10:11], v[2:3], v[4:5]
	global_load_dwordx4 v[4:7], v[12:13], off offset:4032
	ds_read_b128 v[0:3], v200 offset:4032
	ds_write_b128 v200, v[8:11] offset:2016
	s_waitcnt vmcnt(0) lgkmcnt(1)
	v_mul_f64 v[8:9], v[2:3], v[6:7]
	v_mul_f64 v[10:11], v[0:1], v[6:7]
	v_fma_f64 v[8:9], v[0:1], v[4:5], -v[8:9]
	v_fmac_f64_e32 v[10:11], v[2:3], v[4:5]
	v_add_co_u32_e32 v4, vcc, s14, v176
	ds_read_b128 v[0:3], v200 offset:6048
	s_nop 0
	v_addc_co_u32_e32 v5, vcc, 0, v177, vcc
	global_load_dwordx4 v[4:7], v[4:5], off offset:3584
	s_mov_b32 s14, 0x8000
	v_add_co_u32_e32 v12, vcc, s14, v176
	ds_write_b128 v200, v[8:11] offset:4032
	s_nop 0
	v_addc_co_u32_e32 v13, vcc, 0, v177, vcc
	s_mov_b32 s14, 0x9000
	s_waitcnt vmcnt(0) lgkmcnt(1)
	v_mul_f64 v[8:9], v[2:3], v[6:7]
	v_mul_f64 v[10:11], v[0:1], v[6:7]
	v_fma_f64 v[8:9], v[0:1], v[4:5], -v[8:9]
	v_fmac_f64_e32 v[10:11], v[2:3], v[4:5]
	global_load_dwordx4 v[4:7], v[12:13], off offset:1504
	ds_read_b128 v[0:3], v200 offset:8064
	ds_write_b128 v200, v[8:11] offset:6048
	s_waitcnt vmcnt(0) lgkmcnt(1)
	v_mul_f64 v[8:9], v[2:3], v[6:7]
	v_mul_f64 v[10:11], v[0:1], v[6:7]
	v_fma_f64 v[8:9], v[0:1], v[4:5], -v[8:9]
	v_fmac_f64_e32 v[10:11], v[2:3], v[4:5]
	global_load_dwordx4 v[4:7], v[12:13], off offset:3520
	ds_read_b128 v[0:3], v200 offset:10080
	v_add_co_u32_e32 v12, vcc, s14, v176
	ds_write_b128 v200, v[8:11] offset:8064
	s_nop 0
	v_addc_co_u32_e32 v13, vcc, 0, v177, vcc
	s_mov_b32 s14, 0xa000
	s_waitcnt vmcnt(0) lgkmcnt(1)
	v_mul_f64 v[8:9], v[2:3], v[6:7]
	v_mul_f64 v[10:11], v[0:1], v[6:7]
	v_fma_f64 v[8:9], v[0:1], v[4:5], -v[8:9]
	v_fmac_f64_e32 v[10:11], v[2:3], v[4:5]
	global_load_dwordx4 v[4:7], v[12:13], off offset:1440
	ds_read_b128 v[0:3], v200 offset:12096
	ds_write_b128 v200, v[8:11] offset:10080
	s_waitcnt vmcnt(0) lgkmcnt(1)
	v_mul_f64 v[8:9], v[2:3], v[6:7]
	v_mul_f64 v[10:11], v[0:1], v[6:7]
	v_fma_f64 v[8:9], v[0:1], v[4:5], -v[8:9]
	v_fmac_f64_e32 v[10:11], v[2:3], v[4:5]
	global_load_dwordx4 v[4:7], v[12:13], off offset:3456
	ds_read_b128 v[0:3], v200 offset:14112
	;; [unrolled: 20-line block ×4, first 2 shown]
	ds_write_b128 v200, v[8:11] offset:20160
	s_waitcnt vmcnt(0) lgkmcnt(1)
	v_mul_f64 v[8:9], v[2:3], v[6:7]
	v_fma_f64 v[8:9], v[0:1], v[4:5], -v[8:9]
	v_mul_f64 v[10:11], v[0:1], v[6:7]
	v_add_co_u32_e32 v0, vcc, s14, v176
	v_fmac_f64_e32 v[10:11], v[2:3], v[4:5]
	s_nop 0
	v_addc_co_u32_e32 v1, vcc, 0, v177, vcc
	global_load_dwordx4 v[0:3], v[0:1], off offset:1248
	ds_write_b128 v200, v[8:11] offset:22176
	s_waitcnt vmcnt(0)
	v_mul_f64 v[4:5], v[174:175], v[2:3]
	v_mul_f64 v[6:7], v[172:173], v[2:3]
	v_fma_f64 v[4:5], v[172:173], v[0:1], -v[4:5]
	v_fmac_f64_e32 v[6:7], v[174:175], v[0:1]
	ds_write_b128 v200, v[4:7] offset:24192
.LBB0_17:
	s_or_b64 exec, exec, s[0:1]
	s_waitcnt lgkmcnt(0)
	s_barrier
	s_and_saveexec_b64 s[0:1], s[6:7]
	s_cbranch_execz .LBB0_19
; %bb.18:
	ds_read_b128 v[148:151], v200
	ds_read_b128 v[152:155], v200 offset:2016
	ds_read_b128 v[136:139], v200 offset:4032
	;; [unrolled: 1-line block ×12, first 2 shown]
.LBB0_19:
	s_or_b64 exec, exec, s[0:1]
	s_mov_b32 s18, 0x42a4c3d2
	s_waitcnt lgkmcnt(0)
	v_add_f64 v[192:193], v[154:155], -v[134:135]
	s_mov_b32 s14, 0x1ea71119
	s_mov_b32 s19, 0xbfea55e2
	v_add_f64 v[196:197], v[152:153], v[132:133]
	v_add_f64 v[214:215], v[154:155], v[134:135]
	s_mov_b32 s15, 0x3fe22d96
	v_mul_f64 v[60:61], v[192:193], s[18:19]
	v_add_f64 v[198:199], v[152:153], -v[132:133]
	v_mul_f64 v[62:63], v[214:215], s[14:15]
	v_fma_f64 v[4:5], v[196:197], s[14:15], -v[60:61]
	s_mov_b32 s28, 0x66966769
	v_add_f64 v[6:7], v[148:149], v[4:5]
	v_fma_f64 v[4:5], s[18:19], v[198:199], v[62:63]
	s_mov_b32 s29, 0xbfefc445
	v_add_f64 v[8:9], v[150:151], v[4:5]
	s_mov_b32 s26, 0xebaa3ed8
	v_mul_f64 v[4:5], v[192:193], s[28:29]
	s_mov_b32 s27, 0x3fbedb7d
	v_accvgpr_write_b32 a89, v5
	v_mul_f64 v[12:13], v[214:215], s[26:27]
	v_accvgpr_write_b32 a88, v4
	v_fma_f64 v[4:5], v[196:197], s[26:27], -v[4:5]
	s_mov_b32 s36, 0x2ef20147
	v_add_f64 v[10:11], v[148:149], v[4:5]
	v_accvgpr_write_b32 a93, v13
	v_fma_f64 v[4:5], s[28:29], v[198:199], v[12:13]
	s_mov_b32 s37, 0xbfedeba7
	v_accvgpr_write_b32 a92, v12
	v_add_f64 v[12:13], v[150:151], v[4:5]
	s_mov_b32 s38, 0xb2365da1
	v_mul_f64 v[4:5], v[192:193], s[36:37]
	s_mov_b32 s39, 0xbfd6b1d8
	v_accvgpr_write_b32 a101, v5
	s_mov_b32 s24, 0x24c2f84
	v_mul_f64 v[16:17], v[214:215], s[38:39]
	v_accvgpr_write_b32 a100, v4
	v_fma_f64 v[4:5], v[196:197], s[38:39], -v[4:5]
	s_mov_b32 s22, 0xd0032e0c
	s_mov_b32 s25, 0xbfe5384d
	;; [unrolled: 1-line block ×3, first 2 shown]
	v_add_f64 v[14:15], v[148:149], v[4:5]
	v_accvgpr_write_b32 a117, v17
	v_fma_f64 v[4:5], s[36:37], v[198:199], v[16:17]
	s_mov_b32 s23, 0xbfe7f3cc
	v_mul_f64 v[26:27], v[192:193], s[24:25]
	s_mov_b32 s0, 0xe00740e9
	s_mov_b32 s47, 0xbfddbe06
	v_accvgpr_write_b32 a116, v16
	v_add_f64 v[16:17], v[150:151], v[4:5]
	v_mul_f64 v[48:49], v[214:215], s[22:23]
	v_fma_f64 v[4:5], v[196:197], s[22:23], -v[26:27]
	v_add_f64 v[194:195], v[138:139], -v[130:131]
	s_mov_b32 s1, 0x3fec55a7
	v_mul_f64 v[56:57], v[192:193], s[46:47]
	v_add_f64 v[18:19], v[148:149], v[4:5]
	v_fma_f64 v[4:5], s[24:25], v[198:199], v[48:49]
	v_mul_f64 v[22:23], v[194:195], s[18:19]
	v_mul_f64 v[58:59], v[214:215], s[0:1]
	v_fma_f64 v[0:1], v[196:197], s[0:1], -v[56:57]
	v_add_f64 v[20:21], v[150:151], v[4:5]
	v_add_f64 v[46:47], v[136:137], v[128:129]
	;; [unrolled: 1-line block ×3, first 2 shown]
	v_accvgpr_write_b32 a87, v23
	v_add_f64 v[0:1], v[148:149], v[0:1]
	v_fma_f64 v[2:3], s[46:47], v[198:199], v[58:59]
	v_add_f64 v[50:51], v[136:137], -v[128:129]
	v_mul_f64 v[24:25], v[4:5], s[14:15]
	v_accvgpr_write_b32 a86, v22
	v_fma_f64 v[22:23], v[46:47], s[14:15], -v[22:23]
	v_add_f64 v[2:3], v[150:151], v[2:3]
	v_add_f64 v[0:1], v[22:23], v[0:1]
	v_fma_f64 v[22:23], s[18:19], v[50:51], v[24:25]
	v_add_f64 v[2:3], v[22:23], v[2:3]
	v_mul_f64 v[22:23], v[194:195], s[36:37]
	v_accvgpr_write_b32 a91, v25
	v_accvgpr_write_b32 a95, v23
	;; [unrolled: 1-line block ×3, first 2 shown]
	v_mul_f64 v[24:25], v[4:5], s[38:39]
	v_accvgpr_write_b32 a94, v22
	v_fma_f64 v[22:23], v[46:47], s[38:39], -v[22:23]
	s_mov_b32 s30, 0x4bc48dbf
	v_add_f64 v[6:7], v[22:23], v[6:7]
	v_fma_f64 v[22:23], s[36:37], v[50:51], v[24:25]
	s_mov_b32 s31, 0xbfcea1e5
	v_add_f64 v[8:9], v[22:23], v[8:9]
	s_mov_b32 s34, 0x93053d00
	v_mul_f64 v[22:23], v[194:195], s[30:31]
	v_accvgpr_write_b32 a97, v25
	s_mov_b32 s35, 0xbfef11f4
	v_accvgpr_write_b32 a105, v23
	v_accvgpr_write_b32 a96, v24
	v_mul_f64 v[24:25], v[4:5], s[34:35]
	v_accvgpr_write_b32 a104, v22
	v_fma_f64 v[22:23], v[46:47], s[34:35], -v[22:23]
	v_add_f64 v[10:11], v[22:23], v[10:11]
	v_fma_f64 v[22:23], s[30:31], v[50:51], v[24:25]
	s_mov_b32 s45, 0x3fe5384d
	s_mov_b32 s44, s24
	v_add_f64 v[22:23], v[22:23], v[12:13]
	v_mul_f64 v[12:13], v[194:195], s[44:45]
	v_accvgpr_write_b32 a119, v13
	v_accvgpr_write_b32 a111, v25
	v_mul_f64 v[210:211], v[4:5], s[22:23]
	v_accvgpr_write_b32 a118, v12
	v_fma_f64 v[12:13], v[46:47], s[22:23], -v[12:13]
	s_mov_b32 s40, s28
	v_accvgpr_write_b32 a110, v24
	v_add_f64 v[24:25], v[12:13], v[14:15]
	v_fma_f64 v[12:13], s[44:45], v[50:51], v[210:211]
	v_mul_f64 v[222:223], v[194:195], s[40:41]
	v_add_f64 v[16:17], v[12:13], v[16:17]
	v_mul_f64 v[242:243], v[4:5], s[26:27]
	v_fma_f64 v[12:13], v[46:47], s[26:27], -v[222:223]
	v_add_f64 v[14:15], v[158:159], -v[126:127]
	v_add_f64 v[18:19], v[12:13], v[18:19]
	v_fma_f64 v[12:13], s[40:41], v[50:51], v[242:243]
	v_mul_f64 v[28:29], v[14:15], s[28:29]
	v_add_f64 v[20:21], v[12:13], v[20:21]
	v_add_f64 v[216:217], v[156:157], v[124:125]
	;; [unrolled: 1-line block ×3, first 2 shown]
	v_accvgpr_write_b32 a99, v29
	v_add_f64 v[220:221], v[156:157], -v[124:125]
	v_mul_f64 v[30:31], v[12:13], s[26:27]
	v_accvgpr_write_b32 a98, v28
	v_fma_f64 v[28:29], v[216:217], s[26:27], -v[28:29]
	v_add_f64 v[0:1], v[28:29], v[0:1]
	v_fma_f64 v[28:29], s[28:29], v[220:221], v[30:31]
	v_add_f64 v[2:3], v[28:29], v[2:3]
	v_mul_f64 v[28:29], v[14:15], s[30:31]
	v_accvgpr_write_b32 a103, v31
	v_accvgpr_write_b32 a107, v29
	;; [unrolled: 1-line block ×3, first 2 shown]
	v_mul_f64 v[30:31], v[12:13], s[34:35]
	v_accvgpr_write_b32 a106, v28
	v_fma_f64 v[28:29], v[216:217], s[34:35], -v[28:29]
	v_add_f64 v[28:29], v[28:29], v[6:7]
	v_fma_f64 v[6:7], s[30:31], v[220:221], v[30:31]
	s_mov_b32 s49, 0x3fedeba7
	s_mov_b32 s48, s36
	v_add_f64 v[8:9], v[6:7], v[8:9]
	v_mul_f64 v[6:7], v[14:15], s[48:49]
	v_accvgpr_write_b32 a113, v31
	v_accvgpr_write_b32 a121, v7
	;; [unrolled: 1-line block ×3, first 2 shown]
	v_mul_f64 v[30:31], v[12:13], s[38:39]
	v_accvgpr_write_b32 a120, v6
	v_fma_f64 v[6:7], v[216:217], s[38:39], -v[6:7]
	s_mov_b32 s43, 0x3fddbe06
	s_mov_b32 s42, s46
	v_add_f64 v[10:11], v[6:7], v[10:11]
	v_fma_f64 v[6:7], s[48:49], v[220:221], v[30:31]
	v_mul_f64 v[116:117], v[14:15], s[42:43]
	v_add_f64 v[22:23], v[6:7], v[22:23]
	v_mul_f64 v[44:45], v[12:13], s[0:1]
	v_fma_f64 v[6:7], v[216:217], s[0:1], -v[116:117]
	v_accvgpr_write_b32 a127, v31
	v_add_f64 v[24:25], v[6:7], v[24:25]
	v_fma_f64 v[6:7], s[42:43], v[220:221], v[44:45]
	v_mul_f64 v[244:245], v[14:15], s[18:19]
	v_accvgpr_write_b32 a126, v30
	v_add_f64 v[16:17], v[6:7], v[16:17]
	v_mul_f64 v[6:7], v[12:13], s[14:15]
	v_fma_f64 v[30:31], v[216:217], s[14:15], -v[244:245]
	v_add_f64 v[18:19], v[30:31], v[18:19]
	v_fma_f64 v[30:31], s[18:19], v[220:221], v[6:7]
	v_add_f64 v[252:253], v[162:163], -v[122:123]
	v_add_f64 v[30:31], v[30:31], v[20:21]
	v_mul_f64 v[20:21], v[252:253], s[36:37]
	v_add_f64 v[224:225], v[160:161], v[120:121]
	v_add_f64 v[250:251], v[162:163], v[122:123]
	v_accvgpr_write_b32 a109, v21
	v_add_f64 v[226:227], v[160:161], -v[120:121]
	v_mul_f64 v[32:33], v[250:251], s[38:39]
	v_accvgpr_write_b32 a108, v20
	v_fma_f64 v[20:21], v[224:225], s[38:39], -v[20:21]
	v_add_f64 v[0:1], v[20:21], v[0:1]
	v_fma_f64 v[20:21], s[36:37], v[226:227], v[32:33]
	v_add_f64 v[2:3], v[20:21], v[2:3]
	v_mul_f64 v[20:21], v[252:253], s[44:45]
	v_accvgpr_write_b32 a115, v33
	v_accvgpr_write_b32 a123, v21
	v_accvgpr_write_b32 a114, v32
	v_mul_f64 v[32:33], v[250:251], s[22:23]
	v_accvgpr_write_b32 a122, v20
	v_fma_f64 v[20:21], v[224:225], s[22:23], -v[20:21]
	v_add_f64 v[28:29], v[20:21], v[28:29]
	v_accvgpr_write_b32 a129, v33
	v_fma_f64 v[20:21], s[44:45], v[226:227], v[32:33]
	v_mul_f64 v[206:207], v[252:253], s[42:43]
	v_accvgpr_write_b32 a128, v32
	v_add_f64 v[8:9], v[20:21], v[8:9]
	v_mul_f64 v[20:21], v[250:251], s[0:1]
	v_fma_f64 v[32:33], v[224:225], s[0:1], -v[206:207]
	v_add_f64 v[36:37], v[32:33], v[10:11]
	v_fma_f64 v[10:11], s[42:43], v[226:227], v[20:21]
	v_mul_f64 v[32:33], v[252:253], s[28:29]
	v_add_f64 v[40:41], v[10:11], v[22:23]
	v_mul_f64 v[240:241], v[250:251], s[26:27]
	v_fma_f64 v[10:11], v[224:225], s[26:27], -v[32:33]
	s_mov_b32 s51, 0x3fcea1e5
	s_mov_b32 s50, s30
	v_add_f64 v[24:25], v[10:11], v[24:25]
	v_fma_f64 v[10:11], s[28:29], v[226:227], v[240:241]
	v_mul_f64 v[246:247], v[252:253], s[50:51]
	v_add_f64 v[16:17], v[10:11], v[16:17]
	v_mul_f64 v[10:11], v[250:251], s[34:35]
	v_fma_f64 v[22:23], v[224:225], s[34:35], -v[246:247]
	v_add_f64 v[18:19], v[22:23], v[18:19]
	v_fma_f64 v[22:23], s[50:51], v[226:227], v[10:11]
	v_add_f64 v[254:255], v[142:143], -v[146:147]
	v_add_f64 v[30:31], v[22:23], v[30:31]
	v_mul_f64 v[22:23], v[254:255], s[24:25]
	v_add_f64 v[228:229], v[140:141], v[144:145]
	v_add_f64 v[38:39], v[142:143], v[146:147]
	v_accvgpr_write_b32 a125, v23
	v_add_f64 v[232:233], v[140:141], -v[144:145]
	v_mul_f64 v[34:35], v[38:39], s[22:23]
	v_accvgpr_write_b32 a124, v22
	v_fma_f64 v[22:23], v[228:229], s[22:23], -v[22:23]
	v_add_f64 v[0:1], v[22:23], v[0:1]
	v_fma_f64 v[22:23], s[24:25], v[232:233], v[34:35]
	v_mul_f64 v[208:209], v[254:255], s[40:41]
	v_add_f64 v[172:173], v[22:23], v[2:3]
	v_mul_f64 v[22:23], v[38:39], s[26:27]
	v_fma_f64 v[2:3], v[228:229], s[26:27], -v[208:209]
	v_accvgpr_write_b32 a131, v35
	v_add_f64 v[174:175], v[2:3], v[28:29]
	v_fma_f64 v[2:3], s[40:41], v[232:233], v[22:23]
	v_mul_f64 v[28:29], v[254:255], s[18:19]
	v_accvgpr_write_b32 a130, v34
	v_add_f64 v[178:179], v[2:3], v[8:9]
	v_mul_f64 v[34:35], v[38:39], s[14:15]
	v_fma_f64 v[2:3], v[228:229], s[14:15], -v[28:29]
	v_add_f64 v[36:37], v[2:3], v[36:37]
	v_fma_f64 v[2:3], s[18:19], v[232:233], v[34:35]
	v_mul_f64 v[234:235], v[254:255], s[50:51]
	v_add_f64 v[184:185], v[2:3], v[40:41]
	v_mul_f64 v[2:3], v[38:39], s[34:35]
	v_fma_f64 v[8:9], v[228:229], s[34:35], -v[234:235]
	v_add_f64 v[186:187], v[8:9], v[24:25]
	v_fma_f64 v[8:9], s[50:51], v[232:233], v[2:3]
	v_add_f64 v[190:191], v[8:9], v[16:17]
	v_mul_f64 v[8:9], v[254:255], s[42:43]
	v_mul_f64 v[16:17], v[38:39], s[0:1]
	v_fma_f64 v[24:25], v[228:229], s[0:1], -v[8:9]
	v_add_f64 v[42:43], v[166:167], -v[170:171]
	v_add_f64 v[52:53], v[24:25], v[18:19]
	v_fma_f64 v[18:19], s[42:43], v[232:233], v[16:17]
	v_add_f64 v[236:237], v[164:165], v[168:169]
	v_add_f64 v[40:41], v[166:167], v[170:171]
	v_mul_f64 v[118:119], v[42:43], s[30:31]
	v_add_f64 v[54:55], v[18:19], v[30:31]
	v_add_f64 v[238:239], v[164:165], -v[168:169]
	v_mul_f64 v[24:25], v[40:41], s[34:35]
	v_fma_f64 v[18:19], v[236:237], s[34:35], -v[118:119]
	v_add_f64 v[180:181], v[18:19], v[0:1]
	v_fma_f64 v[0:1], s[30:31], v[238:239], v[24:25]
	v_mul_f64 v[30:31], v[42:43], s[42:43]
	v_add_f64 v[182:183], v[0:1], v[172:173]
	v_mul_f64 v[212:213], v[40:41], s[0:1]
	v_fma_f64 v[0:1], v[236:237], s[0:1], -v[30:31]
	v_add_f64 v[176:177], v[0:1], v[174:175]
	v_fma_f64 v[0:1], s[42:43], v[238:239], v[212:213]
	v_mul_f64 v[218:219], v[42:43], s[24:25]
	v_add_f64 v[178:179], v[0:1], v[178:179]
	v_mul_f64 v[230:231], v[40:41], s[22:23]
	v_fma_f64 v[0:1], v[236:237], s[22:23], -v[218:219]
	v_add_f64 v[172:173], v[0:1], v[36:37]
	v_fma_f64 v[0:1], s[24:25], v[238:239], v[230:231]
	s_mov_b32 s53, 0x3fea55e2
	s_mov_b32 s52, s18
	v_add_f64 v[174:175], v[0:1], v[184:185]
	v_mul_f64 v[0:1], v[42:43], s[52:53]
	v_mul_f64 v[248:249], v[40:41], s[14:15]
	v_fma_f64 v[18:19], v[236:237], s[14:15], -v[0:1]
	v_add_f64 v[188:189], v[18:19], v[186:187]
	v_fma_f64 v[18:19], s[52:53], v[238:239], v[248:249]
	v_add_f64 v[190:191], v[18:19], v[190:191]
	v_mul_f64 v[18:19], v[42:43], s[36:37]
	v_mul_f64 v[36:37], v[40:41], s[38:39]
	v_fma_f64 v[184:185], v[236:237], s[38:39], -v[18:19]
	v_add_f64 v[184:185], v[184:185], v[52:53]
	v_fma_f64 v[52:53], s[36:37], v[238:239], v[36:37]
	v_add_f64 v[186:187], v[52:53], v[54:55]
	s_barrier
	s_and_saveexec_b64 s[20:21], s[6:7]
	s_cbranch_execz .LBB0_21
; %bb.20:
	v_accvgpr_write_b32 a135, v59
	v_accvgpr_write_b32 a134, v58
	v_mul_f64 v[58:59], v[198:199], s[30:31]
	v_mul_f64 v[54:55], v[50:51], s[42:43]
	v_accvgpr_write_b32 a133, v57
	v_accvgpr_write_b32 a21, v204
	;; [unrolled: 1-line block ×3, first 2 shown]
	v_fma_f64 v[204:205], s[34:35], v[214:215], v[58:59]
	v_mul_f64 v[52:53], v[220:221], s[24:25]
	v_accvgpr_write_b32 a132, v56
	v_fma_f64 v[56:57], s[0:1], v[4:5], v[54:55]
	v_add_f64 v[204:205], v[150:151], v[204:205]
	v_add_f64 v[56:57], v[56:57], v[204:205]
	v_fma_f64 v[204:205], s[22:23], v[12:13], v[52:53]
	v_add_f64 v[56:57], v[204:205], v[56:57]
	v_mul_f64 v[204:205], v[226:227], s[52:53]
	v_accvgpr_write_b32 a137, v61
	v_accvgpr_write_b32 a136, v60
	v_fma_f64 v[60:61], s[14:15], v[250:251], v[204:205]
	v_add_f64 v[56:57], v[60:61], v[56:57]
	v_mul_f64 v[60:61], v[232:233], s[36:37]
	v_accvgpr_write_b32 a139, v63
	v_accvgpr_write_b32 a138, v62
	v_fma_f64 v[62:63], s[38:39], v[38:39], v[60:61]
	v_mul_f64 v[192:193], v[192:193], s[30:31]
	v_add_f64 v[56:57], v[62:63], v[56:57]
	v_mul_f64 v[62:63], v[194:195], s[42:43]
	v_fma_f64 v[194:195], v[196:197], s[34:35], -v[192:193]
	v_add_f64 v[194:195], v[148:149], v[194:195]
	v_accvgpr_write_b32 a39, v64
	v_accvgpr_write_b32 a76, v65
	v_fma_f64 v[64:65], v[46:47], s[0:1], -v[62:63]
	v_mul_f64 v[14:15], v[14:15], s[24:25]
	v_add_f64 v[64:65], v[64:65], v[194:195]
	v_accvgpr_write_b32 a1, v66
	v_accvgpr_write_b32 a3, v67
	v_fma_f64 v[66:67], v[216:217], s[22:23], -v[14:15]
	v_add_f64 v[64:65], v[66:67], v[64:65]
	v_mul_f64 v[66:67], v[252:253], s[52:53]
	v_fma_f64 v[194:195], v[224:225], s[14:15], -v[66:67]
	v_add_f64 v[64:65], v[194:195], v[64:65]
	v_mul_f64 v[194:195], v[254:255], s[36:37]
	v_fma_f64 v[252:253], v[228:229], s[38:39], -v[194:195]
	v_accvgpr_write_b32 a20, v203
	v_mul_f64 v[202:203], v[238:239], s[40:41]
	v_fma_f64 v[52:53], v[12:13], s[22:23], -v[52:53]
	v_fma_f64 v[12:13], v[4:5], s[0:1], -v[54:55]
	;; [unrolled: 1-line block ×3, first 2 shown]
	v_add_f64 v[64:65], v[252:253], v[64:65]
	v_fma_f64 v[252:253], s[26:27], v[40:41], v[202:203]
	v_mul_f64 v[42:43], v[42:43], s[40:41]
	v_add_f64 v[54:55], v[150:151], v[54:55]
	v_add_f64 v[254:255], v[252:253], v[56:57]
	v_fma_f64 v[56:57], v[236:237], s[26:27], -v[42:43]
	v_add_f64 v[54:55], v[12:13], v[54:55]
	v_add_f64 v[252:253], v[56:57], v[64:65]
	v_fma_f64 v[56:57], v[250:251], s[14:15], -v[204:205]
	v_add_f64 v[52:53], v[52:53], v[54:55]
	v_fma_f64 v[38:39], v[38:39], s[38:39], -v[60:61]
	;; [unrolled: 2-line block ×3, first 2 shown]
	v_add_f64 v[38:39], v[38:39], v[52:53]
	v_mul_f64 v[4:5], v[198:199], s[46:47]
	v_mul_f64 v[12:13], v[198:199], s[18:19]
	;; [unrolled: 1-line block ×5, first 2 shown]
	v_add_f64 v[198:199], v[40:41], v[38:39]
	v_mul_f64 v[40:41], v[238:239], s[36:37]
	v_add_f64 v[36:37], v[36:37], -v[40:41]
	v_mul_f64 v[40:41], v[232:233], s[42:43]
	v_fmac_f64_e32 v[192:193], s[34:35], v[196:197]
	v_add_f64 v[16:17], v[16:17], -v[40:41]
	v_mul_f64 v[40:41], v[226:227], s[50:51]
	v_fmac_f64_e32 v[62:63], s[0:1], v[46:47]
	v_add_f64 v[58:59], v[148:149], v[192:193]
	v_add_f64 v[10:11], v[10:11], -v[40:41]
	v_mul_f64 v[40:41], v[220:221], s[18:19]
	v_add_f64 v[58:59], v[62:63], v[58:59]
	v_fmac_f64_e32 v[14:15], s[22:23], v[216:217]
	v_add_f64 v[6:7], v[6:7], -v[40:41]
	v_mul_f64 v[40:41], v[50:51], s[40:41]
	v_add_f64 v[48:49], v[48:49], -v[64:65]
	v_add_f64 v[58:59], v[14:15], v[58:59]
	v_fmac_f64_e32 v[66:67], s[14:15], v[224:225]
	v_add_f64 v[40:41], v[242:243], -v[40:41]
	v_add_f64 v[48:49], v[150:151], v[48:49]
	v_add_f64 v[58:59], v[66:67], v[58:59]
	v_fmac_f64_e32 v[194:195], s[38:39], v[228:229]
	v_add_f64 v[40:41], v[40:41], v[48:49]
	v_mul_f64 v[62:63], v[196:197], s[22:23]
	v_add_f64 v[58:59], v[194:195], v[58:59]
	v_fmac_f64_e32 v[42:43], s[26:27], v[236:237]
	v_add_f64 v[6:7], v[6:7], v[40:41]
	v_mul_f64 v[250:251], v[196:197], s[0:1]
	v_mul_f64 v[214:215], v[196:197], s[14:15]
	;; [unrolled: 1-line block ×6, first 2 shown]
	v_add_f64 v[196:197], v[42:43], v[58:59]
	v_mul_f64 v[42:43], v[46:47], s[34:35]
	v_mul_f64 v[48:49], v[46:47], s[22:23]
	;; [unrolled: 1-line block ×3, first 2 shown]
	v_add_f64 v[6:7], v[10:11], v[6:7]
	v_mul_f64 v[10:11], v[236:237], s[38:39]
	v_add_f64 v[26:27], v[62:63], v[26:27]
	v_add_f64 v[6:7], v[16:17], v[6:7]
	;; [unrolled: 1-line block ×3, first 2 shown]
	v_mul_f64 v[16:17], v[228:229], s[0:1]
	v_mul_f64 v[18:19], v[216:217], s[14:15]
	v_add_f64 v[46:47], v[46:47], v[222:223]
	v_add_f64 v[26:27], v[148:149], v[26:27]
	;; [unrolled: 1-line block ×3, first 2 shown]
	v_mul_f64 v[16:17], v[224:225], s[34:35]
	v_add_f64 v[18:19], v[18:19], v[244:245]
	v_add_f64 v[26:27], v[46:47], v[26:27]
	;; [unrolled: 1-line block ×5, first 2 shown]
	v_mul_f64 v[18:19], v[232:233], s[50:51]
	v_add_f64 v[2:3], v[2:3], -v[18:19]
	v_mul_f64 v[18:19], v[226:227], s[28:29]
	v_add_f64 v[18:19], v[240:241], -v[18:19]
	v_accvgpr_read_b32 v241, a117
	v_accvgpr_read_b32 v240, a116
	v_mul_f64 v[66:67], v[50:51], s[18:19]
	v_mul_f64 v[38:39], v[50:51], s[36:37]
	;; [unrolled: 1-line block ×4, first 2 shown]
	v_add_f64 v[60:61], v[240:241], -v[60:61]
	v_mul_f64 v[40:41], v[216:217], s[26:27]
	v_mul_f64 v[194:195], v[216:217], s[34:35]
	;; [unrolled: 1-line block ×5, first 2 shown]
	v_add_f64 v[50:51], v[210:211], -v[50:51]
	v_add_f64 v[60:61], v[150:151], v[60:61]
	v_add_f64 v[44:45], v[44:45], -v[216:217]
	v_add_f64 v[50:51], v[50:51], v[60:61]
	v_add_f64 v[16:17], v[8:9], v[16:17]
	;; [unrolled: 1-line block ×5, first 2 shown]
	v_mul_f64 v[16:17], v[238:239], s[52:53]
	v_add_f64 v[18:19], v[18:19], v[44:45]
	v_add_f64 v[16:17], v[248:249], -v[16:17]
	v_add_f64 v[2:3], v[2:3], v[18:19]
	v_add_f64 v[2:3], v[16:17], v[2:3]
	;; [unrolled: 1-line block ×3, first 2 shown]
	v_accvgpr_read_b32 v116, a118
	v_accvgpr_read_b32 v117, a119
	v_add_f64 v[48:49], v[48:49], v[116:117]
	v_accvgpr_read_b32 v117, a101
	v_accvgpr_read_b32 v116, a100
	v_add_f64 v[52:53], v[52:53], v[116:117]
	v_add_f64 v[52:53], v[148:149], v[52:53]
	v_mul_f64 v[26:27], v[224:225], s[38:39]
	v_mul_f64 v[222:223], v[224:225], s[22:23]
	v_mul_f64 v[36:37], v[224:225], s[0:1]
	v_mul_f64 v[224:225], v[224:225], s[26:27]
	v_add_f64 v[48:49], v[48:49], v[52:53]
	v_add_f64 v[32:33], v[224:225], v[32:33]
	;; [unrolled: 1-line block ×4, first 2 shown]
	v_accvgpr_read_b32 v32, a126
	v_mul_f64 v[46:47], v[220:221], s[48:49]
	v_mul_f64 v[216:217], v[228:229], s[22:23]
	;; [unrolled: 1-line block ×6, first 2 shown]
	v_accvgpr_read_b32 v33, a127
	v_mul_f64 v[210:211], v[232:233], s[24:25]
	v_mul_f64 v[60:61], v[232:233], s[40:41]
	;; [unrolled: 1-line block ×3, first 2 shown]
	v_add_f64 v[0:1], v[18:19], v[0:1]
	v_add_f64 v[18:19], v[228:229], v[234:235]
	v_add_f64 v[32:33], v[32:33], -v[46:47]
	v_accvgpr_read_b32 v46, a92
	v_add_f64 v[16:17], v[18:19], v[16:17]
	v_add_f64 v[18:19], v[34:35], -v[232:233]
	v_accvgpr_read_b32 v34, a110
	v_accvgpr_read_b32 v47, a93
	;; [unrolled: 1-line block ×3, first 2 shown]
	v_add_f64 v[46:47], v[46:47], -v[56:57]
	v_add_f64 v[34:35], v[34:35], -v[58:59]
	v_add_f64 v[46:47], v[150:151], v[46:47]
	v_mul_f64 v[64:65], v[220:221], s[28:29]
	v_mul_f64 v[202:203], v[220:221], s[30:31]
	;; [unrolled: 1-line block ×5, first 2 shown]
	v_add_f64 v[34:35], v[34:35], v[46:47]
	v_add_f64 v[20:21], v[20:21], -v[226:227]
	v_add_f64 v[32:33], v[32:33], v[34:35]
	v_add_f64 v[20:21], v[20:21], v[32:33]
	;; [unrolled: 1-line block ×5, first 2 shown]
	v_accvgpr_read_b32 v36, a88
	v_accvgpr_read_b32 v34, a104
	;; [unrolled: 1-line block ×5, first 2 shown]
	v_add_f64 v[36:37], v[54:55], v[36:37]
	v_accvgpr_read_b32 v33, a121
	v_add_f64 v[34:35], v[42:43], v[34:35]
	v_add_f64 v[36:37], v[148:149], v[36:37]
	v_add_f64 v[32:33], v[62:63], v[32:33]
	v_add_f64 v[34:35], v[34:35], v[36:37]
	v_add_f64 v[32:33], v[32:33], v[34:35]
	v_add_f64 v[28:29], v[28:29], v[32:33]
	v_add_f64 v[20:21], v[20:21], v[28:29]
	v_accvgpr_read_b32 v28, a128
	v_accvgpr_read_b32 v34, a138
	;; [unrolled: 1-line block ×5, first 2 shown]
	v_add_f64 v[10:11], v[28:29], -v[10:11]
	v_accvgpr_read_b32 v28, a112
	v_accvgpr_read_b32 v33, a97
	v_add_f64 v[12:13], v[34:35], -v[12:13]
	v_accvgpr_read_b32 v29, a113
	v_add_f64 v[32:33], v[32:33], -v[38:39]
	v_add_f64 v[12:13], v[150:151], v[12:13]
	v_mul_f64 v[44:45], v[236:237], s[34:35]
	v_mul_f64 v[228:229], v[236:237], s[0:1]
	;; [unrolled: 1-line block ×4, first 2 shown]
	v_add_f64 v[28:29], v[28:29], -v[202:203]
	v_add_f64 v[12:13], v[32:33], v[12:13]
	v_add_f64 v[0:1], v[0:1], v[16:17]
	v_add_f64 v[16:17], v[230:231], -v[236:237]
	v_add_f64 v[12:13], v[28:29], v[12:13]
	v_mul_f64 v[224:225], v[238:239], s[42:43]
	v_add_f64 v[18:19], v[16:17], v[18:19]
	v_add_f64 v[16:17], v[234:235], v[218:219]
	v_add_f64 v[22:23], v[22:23], -v[60:61]
	v_add_f64 v[10:11], v[10:11], v[12:13]
	v_add_f64 v[16:17], v[16:17], v[20:21]
	v_add_f64 v[20:21], v[212:213], -v[224:225]
	v_add_f64 v[10:11], v[22:23], v[10:11]
	v_accvgpr_read_b32 v32, a136
	v_add_f64 v[12:13], v[20:21], v[10:11]
	v_add_f64 v[10:11], v[228:229], v[30:31]
	v_accvgpr_read_b32 v30, a94
	v_accvgpr_read_b32 v33, a137
	v_accvgpr_read_b32 v28, a106
	v_accvgpr_read_b32 v31, a95
	v_add_f64 v[32:33], v[214:215], v[32:33]
	v_accvgpr_read_b32 v22, a122
	v_accvgpr_read_b32 v29, a107
	v_add_f64 v[30:31], v[192:193], v[30:31]
	v_add_f64 v[32:33], v[148:149], v[32:33]
	v_accvgpr_read_b32 v23, a123
	v_add_f64 v[28:29], v[194:195], v[28:29]
	v_add_f64 v[30:31], v[30:31], v[32:33]
	;; [unrolled: 3-line block ×3, first 2 shown]
	v_accvgpr_read_b32 v30, a90
	v_accvgpr_read_b32 v33, a135
	v_add_f64 v[20:21], v[240:241], v[208:209]
	v_add_f64 v[22:23], v[22:23], v[28:29]
	v_accvgpr_read_b32 v28, a102
	v_accvgpr_read_b32 v31, a91
	v_add_f64 v[4:5], v[32:33], -v[4:5]
	v_mul_f64 v[242:243], v[238:239], s[30:31]
	v_add_f64 v[20:21], v[20:21], v[22:23]
	v_accvgpr_read_b32 v29, a103
	v_add_f64 v[30:31], v[30:31], -v[66:67]
	v_add_f64 v[4:5], v[150:151], v[4:5]
	v_add_f64 v[10:11], v[10:11], v[20:21]
	v_add_f64 v[20:21], v[24:25], -v[242:243]
	v_accvgpr_read_b32 v24, a114
	v_add_f64 v[28:29], v[28:29], -v[64:65]
	v_add_f64 v[4:5], v[30:31], v[4:5]
	v_accvgpr_read_b32 v25, a115
	v_add_f64 v[4:5], v[28:29], v[4:5]
	v_accvgpr_read_b32 v28, a86
	v_add_f64 v[24:25], v[24:25], -v[220:221]
	v_accvgpr_read_b32 v29, a87
	v_accvgpr_read_b32 v22, a130
	v_add_f64 v[4:5], v[24:25], v[4:5]
	v_accvgpr_read_b32 v24, a108
	v_add_f64 v[14:15], v[14:15], v[28:29]
	v_accvgpr_read_b32 v28, a132
	v_accvgpr_read_b32 v23, a131
	;; [unrolled: 1-line block ×4, first 2 shown]
	v_add_f64 v[22:23], v[22:23], -v[210:211]
	v_add_f64 v[24:25], v[26:27], v[24:25]
	v_accvgpr_read_b32 v26, a98
	v_add_f64 v[28:29], v[250:251], v[28:29]
	v_add_f64 v[4:5], v[22:23], v[4:5]
	v_accvgpr_read_b32 v27, a99
	v_add_f64 v[28:29], v[148:149], v[28:29]
	v_add_f64 v[22:23], v[20:21], v[4:5]
	v_accvgpr_read_b32 v20, a124
	v_add_f64 v[26:27], v[40:41], v[26:27]
	v_add_f64 v[14:15], v[14:15], v[28:29]
	v_accvgpr_read_b32 v21, a125
	v_add_f64 v[14:15], v[26:27], v[14:15]
	v_add_f64 v[20:21], v[216:217], v[20:21]
	v_add_f64 v[14:15], v[24:25], v[14:15]
	;; [unrolled: 1-line block ×28, first 2 shown]
	v_accvgpr_read_b32 v205, a38
	v_accvgpr_read_b32 v204, a21
	;; [unrolled: 1-line block ×8, first 2 shown]
	v_add_f64 v[24:25], v[4:5], v[132:133]
	v_lshlrev_b32_e32 v4, 4, v201
	ds_write_b128 v4, v[24:27]
	ds_write_b128 v4, v[20:23] offset:16
	ds_write_b128 v4, v[10:13] offset:32
	;; [unrolled: 1-line block ×12, first 2 shown]
.LBB0_21:
	s_or_b64 exec, exec, s[20:21]
	s_waitcnt lgkmcnt(0)
	s_barrier
	ds_read_b128 v[132:135], v200
	ds_read_b128 v[128:131], v200 offset:2912
	ds_read_b128 v[148:151], v200 offset:13104
	;; [unrolled: 1-line block ×7, first 2 shown]
	s_and_saveexec_b64 s[0:1], s[2:3]
	s_cbranch_execz .LBB0_23
; %bb.22:
	ds_read_b128 v[184:187], v200 offset:11648
	ds_read_b128 v[188:191], v200 offset:24752
.LBB0_23:
	s_or_b64 exec, exec, s[0:1]
	v_accvgpr_read_b32 v4, a8
	v_accvgpr_read_b32 v6, a10
	;; [unrolled: 1-line block ×3, first 2 shown]
	s_waitcnt lgkmcnt(5)
	v_mul_f64 v[0:1], v[6:7], v[150:151]
	v_mul_f64 v[2:3], v[6:7], v[148:149]
	v_accvgpr_read_b32 v9, a7
	v_accvgpr_read_b32 v5, a9
	;; [unrolled: 1-line block ×3, first 2 shown]
	v_fmac_f64_e32 v[0:1], v[4:5], v[148:149]
	v_fma_f64 v[2:3], v[4:5], v[150:151], -v[2:3]
	v_accvgpr_read_b32 v7, a5
	v_accvgpr_read_b32 v6, a4
	s_waitcnt lgkmcnt(4)
	v_mul_f64 v[12:13], v[8:9], v[146:147]
	v_mul_f64 v[4:5], v[8:9], v[144:145]
	v_fmac_f64_e32 v[12:13], v[6:7], v[144:145]
	v_fma_f64 v[14:15], v[6:7], v[146:147], -v[4:5]
	v_accvgpr_read_b32 v6, a22
	v_accvgpr_read_b32 v8, a24
	v_accvgpr_read_b32 v9, a25
	v_accvgpr_read_b32 v7, a23
	s_waitcnt lgkmcnt(1)
	v_mul_f64 v[20:21], v[8:9], v[142:143]
	v_mul_f64 v[4:5], v[8:9], v[140:141]
	v_fmac_f64_e32 v[20:21], v[6:7], v[140:141]
	v_fma_f64 v[22:23], v[6:7], v[142:143], -v[4:5]
	v_accvgpr_read_b32 v6, a16
	v_accvgpr_read_b32 v8, a18
	;; [unrolled: 9-line block ×3, first 2 shown]
	v_accvgpr_read_b32 v9, a15
	v_accvgpr_read_b32 v7, a13
	v_mul_f64 v[36:37], v[8:9], v[190:191]
	v_mul_f64 v[4:5], v[8:9], v[188:189]
	v_fmac_f64_e32 v[36:37], v[6:7], v[188:189]
	v_fma_f64 v[38:39], v[6:7], v[190:191], -v[4:5]
	v_add_f64 v[4:5], v[132:133], -v[0:1]
	v_add_f64 v[6:7], v[134:135], -v[2:3]
	v_fma_f64 v[8:9], v[132:133], 2.0, -v[4:5]
	v_fma_f64 v[10:11], v[134:135], 2.0, -v[6:7]
	v_add_f64 v[12:13], v[128:129], -v[12:13]
	v_add_f64 v[14:15], v[130:131], -v[14:15]
	;; [unrolled: 1-line block ×8, first 2 shown]
	v_fma_f64 v[16:17], v[128:129], 2.0, -v[12:13]
	v_fma_f64 v[18:19], v[130:131], 2.0, -v[14:15]
	;; [unrolled: 1-line block ×6, first 2 shown]
	s_barrier
	ds_write_b128 v203, v[8:11]
	ds_write_b128 v203, v[4:7] offset:208
	ds_write_b128 v204, v[16:19]
	ds_write_b128 v204, v[12:15] offset:208
	;; [unrolled: 2-line block ×4, first 2 shown]
	s_and_saveexec_b64 s[0:1], s[2:3]
	s_cbranch_execz .LBB0_25
; %bb.24:
	v_mad_legacy_u16 v8, v66, 26, v67
	v_fma_f64 v[6:7], v[186:187], 2.0, -v[2:3]
	v_fma_f64 v[4:5], v[184:185], 2.0, -v[0:1]
	v_lshlrev_b32_e32 v8, 4, v8
	ds_write_b128 v8, v[4:7]
	ds_write_b128 v8, v[0:3] offset:208
.LBB0_25:
	s_or_b64 exec, exec, s[0:1]
	v_accvgpr_read_b32 v42, a64
	s_waitcnt lgkmcnt(0)
	s_barrier
	ds_read_b128 v[12:15], v200
	ds_read_b128 v[16:19], v200 offset:2912
	ds_read_b128 v[8:11], v200 offset:17472
	;; [unrolled: 1-line block ×8, first 2 shown]
	v_accvgpr_read_b32 v44, a66
	v_accvgpr_read_b32 v45, a67
	;; [unrolled: 1-line block ×3, first 2 shown]
	s_waitcnt lgkmcnt(4)
	v_mul_f64 v[40:41], v[44:45], v[26:27]
	v_fmac_f64_e32 v[40:41], v[42:43], v[24:25]
	v_mul_f64 v[24:25], v[44:45], v[24:25]
	v_accvgpr_read_b32 v44, a60
	v_accvgpr_read_b32 v46, a62
	;; [unrolled: 1-line block ×3, first 2 shown]
	v_fma_f64 v[26:27], v[42:43], v[26:27], -v[24:25]
	v_accvgpr_read_b32 v45, a61
	v_mul_f64 v[42:43], v[46:47], v[10:11]
	v_fmac_f64_e32 v[42:43], v[44:45], v[8:9]
	v_mul_f64 v[8:9], v[46:47], v[8:9]
	v_fma_f64 v[8:9], v[44:45], v[10:11], -v[8:9]
	v_accvgpr_read_b32 v44, a48
	v_accvgpr_read_b32 v46, a50
	;; [unrolled: 1-line block ×4, first 2 shown]
	s_waitcnt lgkmcnt(2)
	v_mul_f64 v[10:11], v[46:47], v[30:31]
	v_mul_f64 v[24:25], v[46:47], v[28:29]
	v_fmac_f64_e32 v[10:11], v[44:45], v[28:29]
	v_fma_f64 v[44:45], v[44:45], v[30:31], -v[24:25]
	v_accvgpr_read_b32 v28, a44
	v_accvgpr_read_b32 v30, a46
	;; [unrolled: 1-line block ×4, first 2 shown]
	v_mul_f64 v[46:47], v[30:31], v[22:23]
	v_fmac_f64_e32 v[46:47], v[28:29], v[20:21]
	v_mul_f64 v[20:21], v[30:31], v[20:21]
	v_fma_f64 v[48:49], v[28:29], v[22:23], -v[20:21]
	v_accvgpr_read_b32 v22, a72
	v_accvgpr_read_b32 v24, a74
	;; [unrolled: 1-line block ×4, first 2 shown]
	s_waitcnt lgkmcnt(1)
	v_mul_f64 v[50:51], v[24:25], v[34:35]
	v_mul_f64 v[20:21], v[24:25], v[32:33]
	v_fmac_f64_e32 v[50:51], v[22:23], v[32:33]
	v_fma_f64 v[52:53], v[22:23], v[34:35], -v[20:21]
	v_accvgpr_read_b32 v22, a68
	v_accvgpr_read_b32 v24, a70
	;; [unrolled: 1-line block ×4, first 2 shown]
	s_waitcnt lgkmcnt(0)
	v_mul_f64 v[54:55], v[24:25], v[38:39]
	v_mul_f64 v[20:21], v[24:25], v[36:37]
	v_fmac_f64_e32 v[54:55], v[22:23], v[36:37]
	v_fma_f64 v[56:57], v[22:23], v[38:39], -v[20:21]
	v_add_f64 v[22:23], v[40:41], v[42:43]
	s_mov_b32 s0, 0xe8584caa
	v_add_f64 v[20:21], v[12:13], v[40:41]
	v_fmac_f64_e32 v[12:13], -0.5, v[22:23]
	v_add_f64 v[22:23], v[26:27], -v[8:9]
	s_mov_b32 s1, 0xbfebb67a
	s_mov_b32 s3, 0x3febb67a
	;; [unrolled: 1-line block ×3, first 2 shown]
	v_fma_f64 v[24:25], s[0:1], v[22:23], v[12:13]
	v_fmac_f64_e32 v[12:13], s[2:3], v[22:23]
	v_add_f64 v[22:23], v[14:15], v[26:27]
	v_add_f64 v[22:23], v[22:23], v[8:9]
	v_add_f64 v[8:9], v[26:27], v[8:9]
	v_fmac_f64_e32 v[14:15], -0.5, v[8:9]
	v_add_f64 v[8:9], v[40:41], -v[42:43]
	v_fma_f64 v[26:27], s[2:3], v[8:9], v[14:15]
	v_fmac_f64_e32 v[14:15], s[0:1], v[8:9]
	v_add_f64 v[8:9], v[16:17], v[10:11]
	v_add_f64 v[28:29], v[8:9], v[46:47]
	v_add_f64 v[8:9], v[10:11], v[46:47]
	v_fmac_f64_e32 v[16:17], -0.5, v[8:9]
	v_add_f64 v[8:9], v[44:45], -v[48:49]
	;; [unrolled: 7-line block ×4, first 2 shown]
	v_add_f64 v[20:21], v[20:21], v[42:43]
	v_fma_f64 v[8:9], s[0:1], v[10:11], v[4:5]
	v_fmac_f64_e32 v[4:5], s[2:3], v[10:11]
	v_add_f64 v[10:11], v[6:7], v[52:53]
	v_add_f64 v[38:39], v[10:11], v[56:57]
	;; [unrolled: 1-line block ×3, first 2 shown]
	s_barrier
	ds_write_b128 v65, v[20:23]
	ds_write_b128 v65, v[24:27] offset:416
	ds_write_b128 v65, v[12:15] offset:832
	v_accvgpr_read_b32 v12, a77
	v_fmac_f64_e32 v[6:7], -0.5, v[10:11]
	v_add_f64 v[40:41], v[50:51], -v[54:55]
	ds_write_b128 v12, v[28:31]
	ds_write_b128 v12, v[32:35] offset:416
	ds_write_b128 v12, v[16:19] offset:832
	v_accvgpr_read_b32 v12, a78
	v_fma_f64 v[10:11], s[2:3], v[40:41], v[6:7]
	v_fmac_f64_e32 v[6:7], s[0:1], v[40:41]
	ds_write_b128 v12, v[36:39]
	ds_write_b128 v12, v[8:11] offset:416
	ds_write_b128 v12, v[4:7] offset:832
	s_waitcnt lgkmcnt(0)
	s_barrier
	ds_read_b128 v[12:15], v200
	ds_read_b128 v[60:63], v200 offset:3744
	ds_read_b128 v[56:59], v200 offset:7488
	;; [unrolled: 1-line block ×6, first 2 shown]
	s_and_saveexec_b64 s[0:1], s[4:5]
	s_cbranch_execz .LBB0_27
; %bb.26:
	ds_read_b128 v[8:11], v200 offset:2912
	ds_read_b128 v[4:7], v200 offset:6656
	;; [unrolled: 1-line block ×7, first 2 shown]
.LBB0_27:
	s_or_b64 exec, exec, s[0:1]
	s_waitcnt lgkmcnt(2)
	v_mul_f64 v[32:33], v[78:79], v[42:43]
	v_fmac_f64_e32 v[32:33], v[76:77], v[40:41]
	v_mul_f64 v[34:35], v[78:79], v[40:41]
	s_waitcnt lgkmcnt(1)
	v_mul_f64 v[40:41], v[74:75], v[38:39]
	v_fmac_f64_e32 v[40:41], v[72:73], v[36:37]
	v_mul_f64 v[36:37], v[74:75], v[36:37]
	v_fma_f64 v[36:37], v[72:73], v[38:39], -v[36:37]
	s_waitcnt lgkmcnt(0)
	v_mul_f64 v[38:39], v[70:71], v[18:19]
	v_mul_f64 v[20:21], v[90:91], v[62:63]
	;; [unrolled: 1-line block ×4, first 2 shown]
	v_fmac_f64_e32 v[38:39], v[68:69], v[16:17]
	v_mul_f64 v[16:17], v[70:71], v[16:17]
	v_fmac_f64_e32 v[20:21], v[88:89], v[60:61]
	v_fma_f64 v[22:23], v[88:89], v[62:63], -v[22:23]
	v_fmac_f64_e32 v[24:25], v[84:85], v[56:57]
	v_mul_f64 v[26:27], v[86:87], v[56:57]
	v_mul_f64 v[28:29], v[82:83], v[54:55]
	v_fma_f64 v[16:17], v[68:69], v[18:19], -v[16:17]
	v_fma_f64 v[26:27], v[84:85], v[58:59], -v[26:27]
	v_fmac_f64_e32 v[28:29], v[80:81], v[52:53]
	v_mul_f64 v[30:31], v[82:83], v[52:53]
	v_fma_f64 v[34:35], v[76:77], v[42:43], -v[34:35]
	v_add_f64 v[18:19], v[20:21], v[38:39]
	v_add_f64 v[42:43], v[22:23], v[16:17]
	v_add_f64 v[16:17], v[22:23], -v[16:17]
	v_add_f64 v[22:23], v[24:25], v[40:41]
	v_fma_f64 v[30:31], v[80:81], v[54:55], -v[30:31]
	v_add_f64 v[20:21], v[20:21], -v[38:39]
	v_add_f64 v[38:39], v[26:27], v[36:37]
	v_add_f64 v[26:27], v[26:27], -v[36:37]
	v_add_f64 v[36:37], v[28:29], v[32:33]
	;; [unrolled: 2-line block ×5, first 2 shown]
	v_add_f64 v[32:33], v[36:37], v[32:33]
	v_add_f64 v[34:35], v[40:41], v[34:35]
	;; [unrolled: 1-line block ×3, first 2 shown]
	s_mov_b32 s14, 0x37e14327
	s_mov_b32 s18, 0x36b3c0b5
	;; [unrolled: 1-line block ×5, first 2 shown]
	v_add_f64 v[44:45], v[22:23], -v[18:19]
	v_add_f64 v[46:47], v[38:39], -v[42:43]
	;; [unrolled: 1-line block ×6, first 2 shown]
	v_add_f64 v[48:49], v[28:29], v[24:25]
	v_add_f64 v[50:51], v[30:31], v[26:27]
	v_add_f64 v[52:53], v[28:29], -v[24:25]
	v_add_f64 v[54:55], v[30:31], -v[26:27]
	;; [unrolled: 1-line block ×4, first 2 shown]
	v_add_f64 v[14:15], v[14:15], v[34:35]
	s_mov_b32 s15, 0x3fe948f6
	s_mov_b32 s19, 0x3fac98ee
	;; [unrolled: 1-line block ×5, first 2 shown]
	v_mov_b64_e32 v[56:57], v[12:13]
	s_mov_b32 s2, 0x5476071b
	s_mov_b32 s30, 0xb247c609
	v_add_f64 v[28:29], v[20:21], -v[28:29]
	v_add_f64 v[30:31], v[16:17], -v[30:31]
	v_add_f64 v[20:21], v[48:49], v[20:21]
	v_add_f64 v[16:17], v[50:51], v[16:17]
	v_mul_f64 v[18:19], v[18:19], s[14:15]
	v_mul_f64 v[36:37], v[42:43], s[14:15]
	;; [unrolled: 1-line block ×8, first 2 shown]
	v_fmac_f64_e32 v[56:57], s[28:29], v[32:33]
	v_mov_b64_e32 v[32:33], v[14:15]
	s_mov_b32 s3, 0x3fe77f67
	s_mov_b32 s23, 0xbfe77f67
	;; [unrolled: 1-line block ×7, first 2 shown]
	v_fmac_f64_e32 v[32:33], s[28:29], v[34:35]
	v_fma_f64 v[34:35], v[44:45], s[2:3], -v[40:41]
	v_fma_f64 v[40:41], v[46:47], s[2:3], -v[42:43]
	;; [unrolled: 1-line block ×3, first 2 shown]
	v_fmac_f64_e32 v[18:19], s[18:19], v[22:23]
	v_fma_f64 v[22:23], v[46:47], s[22:23], -v[36:37]
	v_fmac_f64_e32 v[36:37], s[18:19], v[38:39]
	v_fma_f64 v[38:39], v[24:25], s[0:1], -v[48:49]
	;; [unrolled: 2-line block ×4, first 2 shown]
	v_fma_f64 v[52:53], v[30:31], s[26:27], -v[54:55]
	s_mov_b32 s25, 0xbfdc38aa
	v_add_f64 v[54:55], v[18:19], v[56:57]
	v_add_f64 v[58:59], v[36:37], v[32:33]
	v_add_f64 v[28:29], v[34:35], v[56:57]
	v_add_f64 v[30:31], v[40:41], v[32:33]
	v_add_f64 v[34:35], v[42:43], v[56:57]
	v_add_f64 v[36:37], v[22:23], v[32:33]
	v_fmac_f64_e32 v[48:49], s[24:25], v[20:21]
	v_fmac_f64_e32 v[50:51], s[24:25], v[16:17]
	;; [unrolled: 1-line block ×6, first 2 shown]
	v_accvgpr_read_b32 v40, a80
	v_add_f64 v[16:17], v[50:51], v[54:55]
	v_add_f64 v[18:19], v[58:59], -v[48:49]
	v_add_f64 v[20:21], v[52:53], v[34:35]
	v_add_f64 v[22:23], v[36:37], -v[46:47]
	v_add_f64 v[24:25], v[28:29], -v[44:45]
	v_add_f64 v[26:27], v[38:39], v[30:31]
	v_add_f64 v[28:29], v[44:45], v[28:29]
	v_add_f64 v[30:31], v[30:31], -v[38:39]
	v_add_f64 v[32:33], v[34:35], -v[52:53]
	v_add_f64 v[34:35], v[46:47], v[36:37]
	v_add_f64 v[36:37], v[54:55], -v[50:51]
	v_add_f64 v[38:39], v[48:49], v[58:59]
	s_barrier
	ds_write_b128 v40, v[12:15]
	ds_write_b128 v40, v[16:19] offset:1248
	ds_write_b128 v40, v[20:23] offset:2496
	;; [unrolled: 1-line block ×6, first 2 shown]
	s_and_saveexec_b64 s[34:35], s[4:5]
	s_cbranch_execz .LBB0_29
; %bb.28:
	v_accvgpr_read_b32 v38, a40
	v_accvgpr_read_b32 v45, a29
	;; [unrolled: 1-line block ×6, first 2 shown]
	v_mul_f64 v[12:13], v[40:41], v[6:7]
	v_accvgpr_read_b32 v59, a55
	v_accvgpr_read_b32 v64, a82
	;; [unrolled: 1-line block ×5, first 2 shown]
	v_mul_f64 v[26:27], v[44:45], v[2:3]
	v_accvgpr_read_b32 v63, a59
	v_fmac_f64_e32 v[12:13], v[38:39], v[4:5]
	v_accvgpr_read_b32 v58, a54
	v_accvgpr_read_b32 v65, a83
	;; [unrolled: 1-line block ×4, first 2 shown]
	v_fmac_f64_e32 v[26:27], v[42:43], v[0:1]
	v_accvgpr_read_b32 v62, a58
	v_mul_f64 v[4:5], v[40:41], v[4:5]
	v_mul_f64 v[0:1], v[44:45], v[0:1]
	v_accvgpr_read_b32 v57, a53
	v_accvgpr_read_b32 v56, a52
	;; [unrolled: 1-line block ×9, first 2 shown]
	v_mul_f64 v[36:37], v[58:59], v[64:65]
	v_fma_f64 v[4:5], v[38:39], v[6:7], -v[4:5]
	v_mul_f64 v[6:7], v[62:63], v[180:181]
	v_fma_f64 v[42:43], v[42:43], v[2:3], -v[0:1]
	v_mul_f64 v[2:3], v[54:55], v[172:173]
	v_accvgpr_read_b32 v49, a31
	v_accvgpr_read_b32 v48, a30
	v_mul_f64 v[18:19], v[50:51], v[178:179]
	v_fma_f64 v[36:37], v[56:57], v[66:67], -v[36:37]
	v_fma_f64 v[40:41], v[60:61], v[182:183], -v[6:7]
	;; [unrolled: 1-line block ×3, first 2 shown]
	v_mul_f64 v[2:3], v[50:51], v[176:177]
	v_fmac_f64_e32 v[18:19], v[48:49], v[176:177]
	v_add_f64 v[38:39], v[4:5], v[36:37]
	v_add_f64 v[44:45], v[42:43], v[40:41]
	v_fma_f64 v[48:49], v[48:49], v[178:179], -v[2:3]
	v_add_f64 v[0:1], v[44:45], v[38:39]
	v_add_f64 v[6:7], v[46:47], v[48:49]
	;; [unrolled: 1-line block ×4, first 2 shown]
	v_mov_b64_e32 v[50:51], v[2:3]
	v_mul_f64 v[14:15], v[58:59], v[66:67]
	v_mul_f64 v[28:29], v[62:63], v[182:183]
	v_fmac_f64_e32 v[50:51], s[28:29], v[0:1]
	v_add_f64 v[0:1], v[38:39], -v[6:7]
	v_fmac_f64_e32 v[14:15], v[56:57], v[64:65]
	v_mul_f64 v[20:21], v[54:55], v[174:175]
	v_fmac_f64_e32 v[28:29], v[60:61], v[180:181]
	v_mul_f64 v[10:11], v[0:1], s[14:15]
	v_add_f64 v[0:1], v[6:7], -v[44:45]
	v_add_f64 v[16:17], v[12:13], -v[14:15]
	v_fmac_f64_e32 v[20:21], v[52:53], v[172:173]
	v_mul_f64 v[52:53], v[0:1], s[18:19]
	v_fma_f64 v[0:1], s[18:19], v[0:1], v[10:11]
	v_add_f64 v[12:13], v[12:13], v[14:15]
	v_add_f64 v[14:15], v[26:27], v[28:29]
	v_add_f64 v[22:23], v[18:19], -v[20:21]
	v_add_f64 v[54:55], v[0:1], v[50:51]
	v_add_f64 v[0:1], v[14:15], v[12:13]
	;; [unrolled: 1-line block ×5, first 2 shown]
	v_add_f64 v[8:9], v[12:13], -v[18:19]
	v_add_f64 v[30:31], v[26:27], -v[28:29]
	v_mov_b64_e32 v[26:27], v[0:1]
	v_mul_f64 v[8:9], v[8:9], s[14:15]
	v_add_f64 v[18:19], v[18:19], -v[14:15]
	v_add_f64 v[24:25], v[16:17], -v[22:23]
	v_add_f64 v[32:33], v[22:23], -v[30:31]
	v_add_f64 v[22:23], v[22:23], v[30:31]
	v_fmac_f64_e32 v[26:27], s[28:29], v[20:21]
	v_mul_f64 v[20:21], v[18:19], s[18:19]
	v_fma_f64 v[18:19], s[18:19], v[18:19], v[8:9]
	v_add_f64 v[22:23], v[22:23], v[16:17]
	v_add_f64 v[28:29], v[18:19], v[26:27]
	v_add_f64 v[18:19], v[4:5], -v[36:37]
	v_add_f64 v[4:5], v[48:49], -v[46:47]
	;; [unrolled: 1-line block ×4, first 2 shown]
	v_mul_f64 v[32:33], v[32:33], s[20:21]
	v_add_f64 v[36:37], v[18:19], -v[4:5]
	v_add_f64 v[42:43], v[4:5], -v[40:41]
	v_add_f64 v[4:5], v[4:5], v[40:41]
	v_mul_f64 v[30:31], v[16:17], s[0:1]
	v_add_f64 v[12:13], v[14:15], -v[12:13]
	v_fma_f64 v[34:35], s[30:31], v[24:25], v[32:33]
	v_mul_f64 v[42:43], v[42:43], s[20:21]
	v_add_f64 v[48:49], v[4:5], v[18:19]
	v_fma_f64 v[24:25], v[24:25], s[26:27], -v[30:31]
	v_add_f64 v[30:31], v[44:45], -v[38:39]
	v_fma_f64 v[8:9], v[12:13], s[22:23], -v[8:9]
	v_add_f64 v[18:19], v[40:41], -v[18:19]
	v_fma_f64 v[16:17], v[16:17], s[0:1], -v[32:33]
	v_fmac_f64_e32 v[34:35], s[24:25], v[22:23]
	v_fma_f64 v[46:47], s[30:31], v[36:37], v[42:43]
	v_fmac_f64_e32 v[24:25], s[24:25], v[22:23]
	v_fma_f64 v[10:11], v[30:31], s[22:23], -v[10:11]
	v_add_f64 v[44:45], v[8:9], v[26:27]
	v_mul_f64 v[8:9], v[18:19], s[0:1]
	v_fma_f64 v[14:15], v[30:31], s[2:3], -v[52:53]
	v_fmac_f64_e32 v[16:17], s[24:25], v[22:23]
	v_fma_f64 v[12:13], v[12:13], s[2:3], -v[20:21]
	v_fma_f64 v[22:23], v[18:19], s[0:1], -v[42:43]
	v_fmac_f64_e32 v[46:47], s[24:25], v[48:49]
	v_add_f64 v[38:39], v[10:11], v[50:51]
	v_fma_f64 v[36:37], v[36:37], s[26:27], -v[8:9]
	v_add_f64 v[30:31], v[14:15], v[50:51]
	v_add_f64 v[20:21], v[12:13], v[26:27]
	v_fmac_f64_e32 v[22:23], s[24:25], v[48:49]
	v_add_f64 v[4:5], v[28:29], -v[46:47]
	v_add_f64 v[10:11], v[24:25], v[38:39]
	v_fmac_f64_e32 v[36:37], s[24:25], v[48:49]
	v_add_f64 v[14:15], v[30:31], -v[16:17]
	v_add_f64 v[12:13], v[22:23], v[20:21]
	v_add_f64 v[18:19], v[16:17], v[30:31]
	v_add_f64 v[16:17], v[20:21], -v[22:23]
	v_add_f64 v[22:23], v[38:39], -v[24:25]
	v_add_f64 v[24:25], v[46:47], v[28:29]
	v_accvgpr_read_b32 v28, a79
	v_add_f64 v[6:7], v[34:35], v[54:55]
	v_add_f64 v[8:9], v[44:45], -v[36:37]
	v_add_f64 v[20:21], v[36:37], v[44:45]
	v_add_f64 v[26:27], v[54:55], -v[34:35]
	ds_write_b128 v28, v[0:3] offset:17472
	ds_write_b128 v28, v[24:27] offset:18720
	;; [unrolled: 1-line block ×7, first 2 shown]
.LBB0_29:
	s_or_b64 exec, exec, s[34:35]
	s_waitcnt lgkmcnt(0)
	s_barrier
	ds_read_b128 v[0:3], v200
	ds_read_b128 v[4:7], v200 offset:2912
	ds_read_b128 v[8:11], v200 offset:17472
	;; [unrolled: 1-line block ×8, first 2 shown]
	s_waitcnt lgkmcnt(4)
	v_mul_f64 v[36:37], v[94:95], v[18:19]
	v_fmac_f64_e32 v[36:37], v[92:93], v[16:17]
	v_mul_f64 v[16:17], v[94:95], v[16:17]
	v_fma_f64 v[16:17], v[92:93], v[18:19], -v[16:17]
	v_mul_f64 v[18:19], v[98:99], v[10:11]
	v_fmac_f64_e32 v[18:19], v[96:97], v[8:9]
	v_mul_f64 v[8:9], v[98:99], v[8:9]
	v_fma_f64 v[38:39], v[96:97], v[10:11], -v[8:9]
	s_waitcnt lgkmcnt(2)
	v_mul_f64 v[8:9], v[102:103], v[24:25]
	v_mul_f64 v[40:41], v[102:103], v[26:27]
	v_fma_f64 v[26:27], v[100:101], v[26:27], -v[8:9]
	v_mul_f64 v[8:9], v[106:107], v[12:13]
	v_fma_f64 v[44:45], v[104:105], v[14:15], -v[8:9]
	s_waitcnt lgkmcnt(1)
	v_mul_f64 v[8:9], v[110:111], v[28:29]
	v_mul_f64 v[42:43], v[106:107], v[14:15]
	v_fma_f64 v[48:49], v[108:109], v[30:31], -v[8:9]
	s_waitcnt lgkmcnt(0)
	v_mul_f64 v[8:9], v[114:115], v[32:33]
	v_add_f64 v[10:11], v[36:37], v[18:19]
	s_mov_b32 s0, 0xe8584caa
	v_fmac_f64_e32 v[40:41], v[100:101], v[24:25]
	v_fmac_f64_e32 v[42:43], v[104:105], v[12:13]
	v_mul_f64 v[50:51], v[114:115], v[34:35]
	v_fma_f64 v[34:35], v[112:113], v[34:35], -v[8:9]
	v_add_f64 v[8:9], v[0:1], v[36:37]
	v_fmac_f64_e32 v[0:1], -0.5, v[10:11]
	v_add_f64 v[10:11], v[16:17], -v[38:39]
	s_mov_b32 s1, 0xbfebb67a
	s_mov_b32 s3, 0x3febb67a
	;; [unrolled: 1-line block ×3, first 2 shown]
	v_add_f64 v[14:15], v[16:17], v[38:39]
	v_add_f64 v[8:9], v[8:9], v[18:19]
	v_fma_f64 v[12:13], s[0:1], v[10:11], v[0:1]
	v_fmac_f64_e32 v[0:1], s[2:3], v[10:11]
	v_add_f64 v[10:11], v[2:3], v[16:17]
	v_fmac_f64_e32 v[2:3], -0.5, v[14:15]
	v_add_f64 v[16:17], v[36:37], -v[18:19]
	v_add_f64 v[18:19], v[40:41], v[42:43]
	v_mul_f64 v[46:47], v[110:111], v[30:31]
	v_fma_f64 v[14:15], s[2:3], v[16:17], v[2:3]
	v_fmac_f64_e32 v[2:3], s[0:1], v[16:17]
	v_add_f64 v[16:17], v[4:5], v[40:41]
	v_fmac_f64_e32 v[4:5], -0.5, v[18:19]
	v_add_f64 v[18:19], v[26:27], -v[44:45]
	v_fmac_f64_e32 v[46:47], v[108:109], v[28:29]
	v_fmac_f64_e32 v[50:51], v[112:113], v[32:33]
	v_fma_f64 v[24:25], s[0:1], v[18:19], v[4:5]
	v_fmac_f64_e32 v[4:5], s[2:3], v[18:19]
	v_add_f64 v[18:19], v[6:7], v[26:27]
	v_add_f64 v[26:27], v[26:27], v[44:45]
	v_fmac_f64_e32 v[6:7], -0.5, v[26:27]
	v_add_f64 v[28:29], v[40:41], -v[42:43]
	v_add_f64 v[30:31], v[46:47], v[50:51]
	v_fma_f64 v[26:27], s[2:3], v[28:29], v[6:7]
	v_fmac_f64_e32 v[6:7], s[0:1], v[28:29]
	v_add_f64 v[28:29], v[20:21], v[46:47]
	v_fmac_f64_e32 v[20:21], -0.5, v[30:31]
	v_add_f64 v[30:31], v[48:49], -v[34:35]
	v_fma_f64 v[32:33], s[0:1], v[30:31], v[20:21]
	v_fmac_f64_e32 v[20:21], s[2:3], v[30:31]
	v_add_f64 v[30:31], v[22:23], v[48:49]
	v_add_f64 v[30:31], v[30:31], v[34:35]
	v_add_f64 v[34:35], v[48:49], v[34:35]
	v_add_f64 v[10:11], v[10:11], v[38:39]
	v_fmac_f64_e32 v[22:23], -0.5, v[34:35]
	v_add_f64 v[36:37], v[46:47], -v[50:51]
	v_add_f64 v[16:17], v[16:17], v[42:43]
	v_add_f64 v[18:19], v[18:19], v[44:45]
	;; [unrolled: 1-line block ×3, first 2 shown]
	v_fma_f64 v[34:35], s[2:3], v[36:37], v[22:23]
	v_fmac_f64_e32 v[22:23], s[0:1], v[36:37]
	ds_write_b128 v200, v[8:11]
	ds_write_b128 v200, v[12:15] offset:8736
	ds_write_b128 v200, v[0:3] offset:17472
	;; [unrolled: 1-line block ×8, first 2 shown]
	s_waitcnt lgkmcnt(0)
	s_barrier
	s_and_b64 exec, exec, s[6:7]
	s_cbranch_execz .LBB0_31
; %bb.30:
	global_load_dwordx4 v[0:3], v200, s[16:17]
	global_load_dwordx4 v[4:7], v200, s[16:17] offset:2016
	global_load_dwordx4 v[8:11], v200, s[16:17] offset:4032
	v_mov_b32_e32 v201, 0
	s_movk_i32 s0, 0x1000
	v_lshl_add_u64 v[36:37], s[16:17], 0, v[200:201]
	v_add_co_u32_e32 v24, vcc, s0, v36
	v_mad_u64_u32 v[42:43], s[2:3], s8, v202, 0
	s_nop 0
	v_addc_co_u32_e32 v25, vcc, 0, v37, vcc
	global_load_dwordx4 v[12:15], v[24:25], off offset:1952
	ds_read_b128 v[20:23], v200
	ds_read_b128 v[16:19], v200 offset:2016
	global_load_dwordx4 v[24:27], v[24:25], off offset:3968
	s_movk_i32 s3, 0x2000
	v_add_co_u32_e32 v52, vcc, s3, v36
	ds_read_b128 v[32:35], v200 offset:4032
	ds_read_b128 v[28:31], v200 offset:6048
	v_addc_co_u32_e32 v53, vcc, 0, v37, vcc
	global_load_dwordx4 v[44:47], v[52:53], off offset:1888
	v_accvgpr_read_b32 v58, a2
	v_mad_u64_u32 v[40:41], s[0:1], s10, v58, 0
	v_mov_b32_e32 v54, v41
	v_mad_u64_u32 v[58:59], s[4:5], s11, v58, v[54:55]
	global_load_dwordx4 v[52:55], v[52:53], off offset:3904
	s_movk_i32 s6, 0x3000
	v_mov_b32_e32 v56, v43
	v_add_co_u32_e32 v64, vcc, s6, v36
	v_mad_u64_u32 v[56:57], s[4:5], s9, v202, v[56:57]
	s_nop 0
	v_addc_co_u32_e32 v65, vcc, 0, v37, vcc
	ds_read_b128 v[48:51], v200 offset:24192
	v_mov_b32_e32 v41, v58
	v_mov_b32_e32 v43, v56
	global_load_dwordx4 v[56:59], v[64:65], off offset:1824
	global_load_dwordx4 v[60:63], v[64:65], off offset:3840
	s_movk_i32 s7, 0x4000
	v_add_co_u32_e32 v66, vcc, s7, v36
	v_mov_b32_e32 v38, s12
	s_nop 0
	v_addc_co_u32_e32 v67, vcc, 0, v37, vcc
	v_mov_b32_e32 v39, s13
	v_lshl_add_u64 v[38:39], v[40:41], 4, v[38:39]
	v_mov_b32_e32 v72, 0x7e0
	v_lshl_add_u64 v[38:39], v[42:43], 4, v[38:39]
	s_mov_b32 s0, 0x14014014
	s_mul_i32 s2, s9, 0x7e0
	v_mad_u64_u32 v[40:41], s[4:5], s8, v72, v[38:39]
	s_mov_b32 s1, 0x3f440140
	v_add_u32_e32 v41, s2, v41
	v_mad_u64_u32 v[42:43], s[4:5], s8, v72, v[40:41]
	v_add_u32_e32 v43, s2, v43
	s_movk_i32 s3, 0x5000
	s_waitcnt vmcnt(8) lgkmcnt(4)
	v_mul_f64 v[64:65], v[22:23], v[2:3]
	s_waitcnt vmcnt(7) lgkmcnt(3)
	v_mul_f64 v[68:69], v[18:19], v[6:7]
	v_mul_f64 v[6:7], v[16:17], v[6:7]
	s_waitcnt vmcnt(6) lgkmcnt(2)
	v_mul_f64 v[70:71], v[34:35], v[10:11]
	v_mul_f64 v[10:11], v[32:33], v[10:11]
	v_fma_f64 v[6:7], v[4:5], v[18:19], -v[6:7]
	v_fmac_f64_e32 v[70:71], v[32:33], v[8:9]
	v_fma_f64 v[18:19], v[8:9], v[34:35], -v[10:11]
	global_load_dwordx4 v[8:11], v[66:67], off offset:1760
	v_mul_f64 v[2:3], v[20:21], v[2:3]
	v_fmac_f64_e32 v[64:65], v[20:21], v[0:1]
	v_fma_f64 v[2:3], v[0:1], v[22:23], -v[2:3]
	v_fmac_f64_e32 v[68:69], v[16:17], v[4:5]
	v_mul_f64 v[0:1], v[64:65], s[0:1]
	v_mul_f64 v[2:3], v[2:3], s[0:1]
	;; [unrolled: 1-line block ×6, first 2 shown]
	global_store_dwordx4 v[38:39], v[0:3], off
	global_store_dwordx4 v[40:41], v[4:7], off
	;; [unrolled: 1-line block ×3, first 2 shown]
	s_waitcnt vmcnt(9) lgkmcnt(1)
	v_mul_f64 v[2:3], v[28:29], v[14:15]
	global_load_dwordx4 v[4:7], v[66:67], off offset:3776
	v_mul_f64 v[0:1], v[30:31], v[14:15]
	v_fma_f64 v[2:3], v[12:13], v[30:31], -v[2:3]
	v_add_co_u32_e32 v30, vcc, s3, v36
	v_fmac_f64_e32 v[0:1], v[28:29], v[12:13]
	s_nop 0
	v_addc_co_u32_e32 v31, vcc, 0, v37, vcc
	global_load_dwordx4 v[16:19], v[30:31], off offset:1696
	ds_read_b128 v[12:15], v200 offset:8064
	v_mad_u64_u32 v[28:29], s[4:5], s8, v72, v[42:43]
	v_mul_f64 v[0:1], v[0:1], s[0:1]
	v_mul_f64 v[2:3], v[2:3], s[0:1]
	v_add_u32_e32 v29, s2, v29
	global_store_dwordx4 v[28:29], v[0:3], off
	ds_read_b128 v[0:3], v200 offset:10080
	s_waitcnt vmcnt(11) lgkmcnt(1)
	v_mul_f64 v[20:21], v[14:15], v[26:27]
	v_fmac_f64_e32 v[20:21], v[12:13], v[24:25]
	v_mul_f64 v[12:13], v[12:13], v[26:27]
	v_fma_f64 v[12:13], v[24:25], v[14:15], -v[12:13]
	v_mul_f64 v[22:23], v[12:13], s[0:1]
	s_waitcnt vmcnt(10) lgkmcnt(0)
	v_mul_f64 v[12:13], v[2:3], v[46:47]
	v_fmac_f64_e32 v[12:13], v[0:1], v[44:45]
	v_mul_f64 v[0:1], v[0:1], v[46:47]
	v_mad_u64_u32 v[24:25], s[4:5], s8, v72, v[28:29]
	v_fma_f64 v[0:1], v[44:45], v[2:3], -v[0:1]
	v_mul_f64 v[20:21], v[20:21], s[0:1]
	v_add_u32_e32 v25, s2, v25
	v_mul_f64 v[14:15], v[0:1], s[0:1]
	ds_read_b128 v[0:3], v200 offset:12096
	global_store_dwordx4 v[24:25], v[20:23], off
	v_mad_u64_u32 v[24:25], s[4:5], s8, v72, v[24:25]
	v_mul_f64 v[12:13], v[12:13], s[0:1]
	v_add_u32_e32 v25, s2, v25
	global_store_dwordx4 v[24:25], v[12:15], off
	ds_read_b128 v[12:15], v200 offset:14112
	s_waitcnt vmcnt(11) lgkmcnt(1)
	v_mul_f64 v[20:21], v[2:3], v[54:55]
	v_fmac_f64_e32 v[20:21], v[0:1], v[52:53]
	v_mul_f64 v[0:1], v[0:1], v[54:55]
	v_fma_f64 v[0:1], v[52:53], v[2:3], -v[0:1]
	v_mul_f64 v[22:23], v[0:1], s[0:1]
	v_mad_u64_u32 v[24:25], s[4:5], s8, v72, v[24:25]
	s_waitcnt vmcnt(10) lgkmcnt(0)
	v_mul_f64 v[0:1], v[14:15], v[58:59]
	v_mul_f64 v[2:3], v[12:13], v[58:59]
	;; [unrolled: 1-line block ×3, first 2 shown]
	v_add_u32_e32 v25, s2, v25
	v_fmac_f64_e32 v[0:1], v[12:13], v[56:57]
	v_fma_f64 v[2:3], v[56:57], v[14:15], -v[2:3]
	ds_read_b128 v[12:15], v200 offset:16128
	global_store_dwordx4 v[24:25], v[20:23], off
	v_mad_u64_u32 v[24:25], s[4:5], s8, v72, v[24:25]
	v_mul_f64 v[0:1], v[0:1], s[0:1]
	v_mul_f64 v[2:3], v[2:3], s[0:1]
	v_add_u32_e32 v25, s2, v25
	global_store_dwordx4 v[24:25], v[0:3], off
	ds_read_b128 v[0:3], v200 offset:18144
	s_waitcnt vmcnt(11) lgkmcnt(1)
	v_mul_f64 v[20:21], v[14:15], v[62:63]
	v_fmac_f64_e32 v[20:21], v[12:13], v[60:61]
	v_mul_f64 v[12:13], v[12:13], v[62:63]
	v_fma_f64 v[12:13], v[60:61], v[14:15], -v[12:13]
	v_mul_f64 v[22:23], v[12:13], s[0:1]
	v_mad_u64_u32 v[24:25], s[4:5], s8, v72, v[24:25]
	s_waitcnt vmcnt(10) lgkmcnt(0)
	v_mul_f64 v[12:13], v[2:3], v[10:11]
	v_fmac_f64_e32 v[12:13], v[0:1], v[8:9]
	v_mul_f64 v[0:1], v[0:1], v[10:11]
	v_fma_f64 v[0:1], v[8:9], v[2:3], -v[0:1]
	v_mul_f64 v[14:15], v[0:1], s[0:1]
	ds_read_b128 v[0:3], v200 offset:20160
	ds_read_b128 v[8:11], v200 offset:22176
	v_mul_f64 v[20:21], v[20:21], s[0:1]
	v_add_u32_e32 v25, s2, v25
	global_store_dwordx4 v[24:25], v[20:23], off
	v_mul_f64 v[12:13], v[12:13], s[0:1]
	s_nop 0
	v_mad_u64_u32 v[20:21], s[4:5], s8, v72, v[24:25]
	v_add_u32_e32 v21, s2, v21
	global_store_dwordx4 v[20:21], v[12:15], off
	s_waitcnt vmcnt(8) lgkmcnt(1)
	s_nop 0
	v_mul_f64 v[12:13], v[2:3], v[6:7]
	v_fmac_f64_e32 v[12:13], v[0:1], v[4:5]
	v_mul_f64 v[0:1], v[0:1], v[6:7]
	v_fma_f64 v[0:1], v[4:5], v[2:3], -v[0:1]
	v_mad_u64_u32 v[4:5], s[4:5], s8, v72, v[20:21]
	v_mul_f64 v[14:15], v[0:1], s[0:1]
	v_add_u32_e32 v5, s2, v5
	s_waitcnt vmcnt(7) lgkmcnt(0)
	v_mul_f64 v[0:1], v[10:11], v[18:19]
	v_mul_f64 v[2:3], v[8:9], v[18:19]
	v_fmac_f64_e32 v[0:1], v[8:9], v[16:17]
	v_fma_f64 v[2:3], v[16:17], v[10:11], -v[2:3]
	v_mad_u64_u32 v[8:9], s[4:5], s8, v72, v[4:5]
	v_mul_f64 v[12:13], v[12:13], s[0:1]
	v_mul_f64 v[0:1], v[0:1], s[0:1]
	;; [unrolled: 1-line block ×3, first 2 shown]
	v_add_u32_e32 v9, s2, v9
	global_store_dwordx4 v[4:5], v[12:15], off
	global_store_dwordx4 v[8:9], v[0:3], off
	global_load_dwordx4 v[0:3], v[30:31], off offset:3712
	s_waitcnt vmcnt(0)
	v_mul_f64 v[4:5], v[50:51], v[2:3]
	v_mul_f64 v[2:3], v[48:49], v[2:3]
	v_fmac_f64_e32 v[4:5], v[48:49], v[0:1]
	v_fma_f64 v[0:1], v[0:1], v[50:51], -v[2:3]
	v_mul_f64 v[4:5], v[4:5], s[0:1]
	v_mul_f64 v[6:7], v[0:1], s[0:1]
	v_mad_u64_u32 v[0:1], s[0:1], s8, v72, v[8:9]
	v_add_u32_e32 v1, s2, v1
	global_store_dwordx4 v[0:1], v[4:7], off
.LBB0_31:
	s_endpgm
	.section	.rodata,"a",@progbits
	.p2align	6, 0x0
	.amdhsa_kernel bluestein_single_fwd_len1638_dim1_dp_op_CI_CI
		.amdhsa_group_segment_fixed_size 26208
		.amdhsa_private_segment_fixed_size 0
		.amdhsa_kernarg_size 104
		.amdhsa_user_sgpr_count 2
		.amdhsa_user_sgpr_dispatch_ptr 0
		.amdhsa_user_sgpr_queue_ptr 0
		.amdhsa_user_sgpr_kernarg_segment_ptr 1
		.amdhsa_user_sgpr_dispatch_id 0
		.amdhsa_user_sgpr_kernarg_preload_length 0
		.amdhsa_user_sgpr_kernarg_preload_offset 0
		.amdhsa_user_sgpr_private_segment_size 0
		.amdhsa_uses_dynamic_stack 0
		.amdhsa_enable_private_segment 0
		.amdhsa_system_sgpr_workgroup_id_x 1
		.amdhsa_system_sgpr_workgroup_id_y 0
		.amdhsa_system_sgpr_workgroup_id_z 0
		.amdhsa_system_sgpr_workgroup_info 0
		.amdhsa_system_vgpr_workitem_id 0
		.amdhsa_next_free_vgpr 396
		.amdhsa_next_free_sgpr 54
		.amdhsa_accum_offset 256
		.amdhsa_reserve_vcc 1
		.amdhsa_float_round_mode_32 0
		.amdhsa_float_round_mode_16_64 0
		.amdhsa_float_denorm_mode_32 3
		.amdhsa_float_denorm_mode_16_64 3
		.amdhsa_dx10_clamp 1
		.amdhsa_ieee_mode 1
		.amdhsa_fp16_overflow 0
		.amdhsa_tg_split 0
		.amdhsa_exception_fp_ieee_invalid_op 0
		.amdhsa_exception_fp_denorm_src 0
		.amdhsa_exception_fp_ieee_div_zero 0
		.amdhsa_exception_fp_ieee_overflow 0
		.amdhsa_exception_fp_ieee_underflow 0
		.amdhsa_exception_fp_ieee_inexact 0
		.amdhsa_exception_int_div_zero 0
	.end_amdhsa_kernel
	.text
.Lfunc_end0:
	.size	bluestein_single_fwd_len1638_dim1_dp_op_CI_CI, .Lfunc_end0-bluestein_single_fwd_len1638_dim1_dp_op_CI_CI
                                        ; -- End function
	.section	.AMDGPU.csdata,"",@progbits
; Kernel info:
; codeLenInByte = 22752
; NumSgprs: 60
; NumVgprs: 256
; NumAgprs: 140
; TotalNumVgprs: 396
; ScratchSize: 0
; MemoryBound: 0
; FloatMode: 240
; IeeeMode: 1
; LDSByteSize: 26208 bytes/workgroup (compile time only)
; SGPRBlocks: 7
; VGPRBlocks: 49
; NumSGPRsForWavesPerEU: 60
; NumVGPRsForWavesPerEU: 396
; AccumOffset: 256
; Occupancy: 1
; WaveLimiterHint : 1
; COMPUTE_PGM_RSRC2:SCRATCH_EN: 0
; COMPUTE_PGM_RSRC2:USER_SGPR: 2
; COMPUTE_PGM_RSRC2:TRAP_HANDLER: 0
; COMPUTE_PGM_RSRC2:TGID_X_EN: 1
; COMPUTE_PGM_RSRC2:TGID_Y_EN: 0
; COMPUTE_PGM_RSRC2:TGID_Z_EN: 0
; COMPUTE_PGM_RSRC2:TIDIG_COMP_CNT: 0
; COMPUTE_PGM_RSRC3_GFX90A:ACCUM_OFFSET: 63
; COMPUTE_PGM_RSRC3_GFX90A:TG_SPLIT: 0
	.text
	.p2alignl 6, 3212836864
	.fill 256, 4, 3212836864
	.type	__hip_cuid_2e4332afa835af20,@object ; @__hip_cuid_2e4332afa835af20
	.section	.bss,"aw",@nobits
	.globl	__hip_cuid_2e4332afa835af20
__hip_cuid_2e4332afa835af20:
	.byte	0                               ; 0x0
	.size	__hip_cuid_2e4332afa835af20, 1

	.ident	"AMD clang version 19.0.0git (https://github.com/RadeonOpenCompute/llvm-project roc-6.4.0 25133 c7fe45cf4b819c5991fe208aaa96edf142730f1d)"
	.section	".note.GNU-stack","",@progbits
	.addrsig
	.addrsig_sym __hip_cuid_2e4332afa835af20
	.amdgpu_metadata
---
amdhsa.kernels:
  - .agpr_count:     140
    .args:
      - .actual_access:  read_only
        .address_space:  global
        .offset:         0
        .size:           8
        .value_kind:     global_buffer
      - .actual_access:  read_only
        .address_space:  global
        .offset:         8
        .size:           8
        .value_kind:     global_buffer
      - .actual_access:  read_only
        .address_space:  global
        .offset:         16
        .size:           8
        .value_kind:     global_buffer
      - .actual_access:  read_only
        .address_space:  global
        .offset:         24
        .size:           8
        .value_kind:     global_buffer
      - .actual_access:  read_only
        .address_space:  global
        .offset:         32
        .size:           8
        .value_kind:     global_buffer
      - .offset:         40
        .size:           8
        .value_kind:     by_value
      - .address_space:  global
        .offset:         48
        .size:           8
        .value_kind:     global_buffer
      - .address_space:  global
        .offset:         56
        .size:           8
        .value_kind:     global_buffer
      - .address_space:  global
        .offset:         64
        .size:           8
        .value_kind:     global_buffer
      - .address_space:  global
        .offset:         72
        .size:           8
        .value_kind:     global_buffer
      - .offset:         80
        .size:           4
        .value_kind:     by_value
      - .address_space:  global
        .offset:         88
        .size:           8
        .value_kind:     global_buffer
      - .address_space:  global
        .offset:         96
        .size:           8
        .value_kind:     global_buffer
    .group_segment_fixed_size: 26208
    .kernarg_segment_align: 8
    .kernarg_segment_size: 104
    .language:       OpenCL C
    .language_version:
      - 2
      - 0
    .max_flat_workgroup_size: 182
    .name:           bluestein_single_fwd_len1638_dim1_dp_op_CI_CI
    .private_segment_fixed_size: 0
    .sgpr_count:     60
    .sgpr_spill_count: 0
    .symbol:         bluestein_single_fwd_len1638_dim1_dp_op_CI_CI.kd
    .uniform_work_group_size: 1
    .uses_dynamic_stack: false
    .vgpr_count:     396
    .vgpr_spill_count: 0
    .wavefront_size: 64
amdhsa.target:   amdgcn-amd-amdhsa--gfx950
amdhsa.version:
  - 1
  - 2
...

	.end_amdgpu_metadata
